;; amdgpu-corpus repo=ROCm/rocFFT kind=compiled arch=gfx906 opt=O3
	.text
	.amdgcn_target "amdgcn-amd-amdhsa--gfx906"
	.amdhsa_code_object_version 6
	.protected	bluestein_single_back_len768_dim1_half_op_CI_CI ; -- Begin function bluestein_single_back_len768_dim1_half_op_CI_CI
	.globl	bluestein_single_back_len768_dim1_half_op_CI_CI
	.p2align	8
	.type	bluestein_single_back_len768_dim1_half_op_CI_CI,@function
bluestein_single_back_len768_dim1_half_op_CI_CI: ; @bluestein_single_back_len768_dim1_half_op_CI_CI
; %bb.0:
	s_load_dwordx4 s[16:19], s[4:5], 0x28
	v_mul_u32_u24_e32 v1, 0x556, v0
	v_add_u32_sdwa v15, s6, v1 dst_sel:DWORD dst_unused:UNUSED_PAD src0_sel:DWORD src1_sel:WORD_1
	v_mov_b32_e32 v16, 0
	s_waitcnt lgkmcnt(0)
	v_cmp_gt_u64_e32 vcc, s[16:17], v[15:16]
	s_and_saveexec_b64 s[0:1], vcc
	s_cbranch_execz .LBB0_10
; %bb.1:
	s_load_dwordx4 s[12:15], s[4:5], 0x18
	v_mov_b32_e32 v2, 48
	v_mul_lo_u16_sdwa v1, v1, v2 dst_sel:DWORD dst_unused:UNUSED_PAD src0_sel:WORD_1 src1_sel:DWORD
	v_sub_u16_e32 v50, v0, v1
	v_lshlrev_b32_e32 v46, 2, v50
	s_waitcnt lgkmcnt(0)
	s_load_dwordx4 s[8:11], s[12:13], 0x0
	v_or_b32_e32 v44, 0xc0, v50
	v_or_b32_e32 v39, 0x180, v50
	;; [unrolled: 1-line block ×3, first 2 shown]
	s_waitcnt lgkmcnt(0)
	v_mad_u64_u32 v[0:1], s[0:1], s10, v15, 0
	v_mad_u64_u32 v[2:3], s[0:1], s8, v50, 0
	s_mul_i32 s6, s9, 0xc0
	s_mul_hi_u32 s12, s8, 0xc0
	v_mad_u64_u32 v[4:5], s[0:1], s11, v15, v[1:2]
	s_add_i32 s12, s12, s6
	s_mul_i32 s13, s8, 0xc0
	v_mad_u64_u32 v[5:6], s[0:1], s9, v50, v[3:4]
	v_mov_b32_e32 v1, v4
	v_lshlrev_b64 v[0:1], 2, v[0:1]
	v_mov_b32_e32 v6, s19
	v_mov_b32_e32 v3, v5
	v_add_co_u32_e32 v7, vcc, s18, v0
	v_addc_co_u32_e32 v8, vcc, v6, v1, vcc
	v_lshlrev_b64 v[0:1], 2, v[2:3]
	s_load_dwordx4 s[0:3], s[4:5], 0x0
	s_load_dwordx2 s[10:11], s[4:5], 0x38
	v_add_co_u32_e32 v0, vcc, v7, v0
	v_addc_co_u32_e32 v1, vcc, v8, v1, vcc
	v_mov_b32_e32 v3, s12
	v_add_co_u32_e32 v2, vcc, s13, v0
	v_addc_co_u32_e32 v3, vcc, v1, v3, vcc
	global_load_dword v9, v[0:1], off
	global_load_dword v10, v[2:3], off
	s_waitcnt lgkmcnt(0)
	global_load_dword v52, v46, s[0:1]
	global_load_dword v51, v46, s[0:1] offset:192
	v_mov_b32_e32 v1, s12
	v_add_co_u32_e32 v0, vcc, s13, v2
	v_addc_co_u32_e32 v1, vcc, v3, v1, vcc
	global_load_dword v11, v[0:1], off
	global_load_dword v49, v46, s[0:1] offset:384
	v_mov_b32_e32 v3, s12
	v_add_co_u32_e32 v2, vcc, s13, v0
	v_addc_co_u32_e32 v3, vcc, v1, v3, vcc
	global_load_dword v12, v[2:3], off
	global_load_dword v48, v46, s[0:1] offset:576
	s_load_dwordx4 s[4:7], s[14:15], 0x0
	v_mad_u64_u32 v[4:5], s[14:15], s8, v44, 0
	v_mov_b32_e32 v1, s1
	s_mul_i32 s15, s9, 0x180
	v_mov_b32_e32 v0, v5
	v_mad_u64_u32 v[5:6], s[16:17], s9, v44, v[0:1]
	s_mul_hi_u32 s18, s8, 0x180
	s_mul_i32 s14, s8, 0x180
	v_lshlrev_b64 v[4:5], 2, v[4:5]
	s_add_i32 s15, s18, s15
	v_add_co_u32_e32 v4, vcc, v7, v4
	v_addc_co_u32_e32 v5, vcc, v8, v5, vcc
	v_mov_b32_e32 v0, s15
	v_add_co_u32_e32 v2, vcc, s14, v2
	global_load_dword v47, v46, s[0:1] offset:768
	global_load_dword v45, v46, s[0:1] offset:960
	;; [unrolled: 1-line block ×4, first 2 shown]
	v_addc_co_u32_e32 v3, vcc, v3, v0, vcc
	global_load_dword v13, v[4:5], off
	global_load_dword v14, v[2:3], off
	v_mov_b32_e32 v6, s12
	v_add_co_u32_e32 v2, vcc, s13, v2
	v_addc_co_u32_e32 v3, vcc, v3, v6, vcc
	v_mov_b32_e32 v21, s12
	s_waitcnt vmcnt(13)
	v_lshrrev_b32_e32 v0, 16, v9
	s_waitcnt vmcnt(11)
	v_mul_f16_sdwa v4, v52, v9 dst_sel:DWORD dst_unused:UNUSED_PAD src0_sel:WORD_1 src1_sel:DWORD
	v_mul_f16_sdwa v5, v52, v0 dst_sel:DWORD dst_unused:UNUSED_PAD src0_sel:WORD_1 src1_sel:DWORD
	v_fma_f16 v0, v52, v0, -v4
	v_lshrrev_b32_e32 v4, 16, v10
	s_waitcnt vmcnt(10)
	v_mul_f16_sdwa v16, v51, v10 dst_sel:DWORD dst_unused:UNUSED_PAD src0_sel:WORD_1 src1_sel:DWORD
	v_fma_f16 v5, v52, v9, v5
	v_mul_f16_sdwa v9, v51, v4 dst_sel:DWORD dst_unused:UNUSED_PAD src0_sel:WORD_1 src1_sel:DWORD
	v_fma_f16 v4, v51, v4, -v16
	s_waitcnt vmcnt(9)
	v_lshrrev_b32_e32 v16, 16, v11
	s_waitcnt vmcnt(8)
	v_mul_f16_sdwa v17, v49, v11 dst_sel:DWORD dst_unused:UNUSED_PAD src0_sel:WORD_1 src1_sel:DWORD
	v_pack_b32_f16 v0, v5, v0
	v_fma_f16 v5, v51, v10, v9
	v_mul_f16_sdwa v9, v49, v16 dst_sel:DWORD dst_unused:UNUSED_PAD src0_sel:WORD_1 src1_sel:DWORD
	v_fma_f16 v10, v49, v16, -v17
	v_pack_b32_f16 v4, v5, v4
	v_fma_f16 v5, v49, v11, v9
	ds_write2_b32 v46, v0, v4 offset1:48
	v_pack_b32_f16 v10, v5, v10
	v_mad_u64_u32 v[4:5], s[16:17], s8, v39, 0
	global_load_dword v11, v[2:3], off
	v_mov_b32_e32 v17, s12
	v_mov_b32_e32 v0, v5
	v_mad_u64_u32 v[5:6], s[16:17], s9, v39, v[0:1]
	v_add_co_u32_e32 v2, vcc, s13, v2
	v_addc_co_u32_e32 v3, vcc, v3, v17, vcc
	global_load_dword v17, v[2:3], off
	v_lshlrev_b64 v[4:5], 2, v[4:5]
	v_mov_b32_e32 v0, s15
	v_add_co_u32_e32 v4, vcc, v7, v4
	v_addc_co_u32_e32 v5, vcc, v8, v5, vcc
	global_load_dword v18, v[4:5], off
	global_load_dword v42, v46, s[0:1] offset:1536
	v_add_co_u32_e32 v2, vcc, s14, v2
	v_addc_co_u32_e32 v3, vcc, v3, v0, vcc
	global_load_dword v19, v[2:3], off
	v_mad_u64_u32 v[4:5], s[16:17], s8, v34, 0
	v_mov_b32_e32 v0, s12
	v_add_co_u32_e32 v2, vcc, s13, v2
	v_addc_co_u32_e32 v3, vcc, v3, v0, vcc
	global_load_dword v40, v46, s[0:1] offset:1728
	global_load_dword v20, v[2:3], off
	global_load_dword v38, v46, s[0:1] offset:1920
	v_mov_b32_e32 v0, v5
	v_mad_u64_u32 v[5:6], s[8:9], s9, v34, v[0:1]
	v_add_co_u32_e32 v2, vcc, s13, v2
	v_addc_co_u32_e32 v3, vcc, v3, v21, vcc
	global_load_dword v0, v[2:3], off
	global_load_dword v37, v46, s[0:1] offset:2112
	v_lshlrev_b64 v[4:5], 2, v[4:5]
	s_waitcnt vmcnt(17)
	v_lshrrev_b32_e32 v16, 16, v12
	v_add_co_u32_e32 v4, vcc, v7, v4
	v_addc_co_u32_e32 v5, vcc, v8, v5, vcc
	global_load_dword v6, v[4:5], off
	global_load_dword v36, v46, s[0:1] offset:2304
	v_mov_b32_e32 v4, s15
	v_add_co_u32_e32 v2, vcc, s14, v2
	v_addc_co_u32_e32 v3, vcc, v3, v4, vcc
	global_load_dword v4, v[2:3], off
	global_load_dword v35, v46, s[0:1] offset:2496
	v_mov_b32_e32 v5, s12
	;; [unrolled: 5-line block ×3, first 2 shown]
	v_add_co_u32_e32 v2, vcc, s13, v2
	v_addc_co_u32_e32 v3, vcc, v3, v7, vcc
	global_load_dword v7, v[2:3], off
	global_load_dword v32, v46, s[0:1] offset:2880
	s_waitcnt vmcnt(24)
	v_mul_f16_sdwa v9, v48, v16 dst_sel:DWORD dst_unused:UNUSED_PAD src0_sel:WORD_1 src1_sel:DWORD
	v_mul_f16_sdwa v2, v48, v12 dst_sel:DWORD dst_unused:UNUSED_PAD src0_sel:WORD_1 src1_sel:DWORD
	v_fma_f16 v9, v48, v12, v9
	v_fma_f16 v2, v48, v16, -v2
	v_pack_b32_f16 v2, v9, v2
	ds_write2_b32 v46, v10, v2 offset0:96 offset1:144
	s_waitcnt vmcnt(19)
	v_lshrrev_b32_e32 v2, 16, v13
	v_mul_f16_sdwa v3, v47, v2 dst_sel:DWORD dst_unused:UNUSED_PAD src0_sel:WORD_1 src1_sel:DWORD
	v_mul_f16_sdwa v8, v47, v13 dst_sel:DWORD dst_unused:UNUSED_PAD src0_sel:WORD_1 src1_sel:DWORD
	v_fma_f16 v3, v47, v13, v3
	v_fma_f16 v2, v47, v2, -v8
	v_pack_b32_f16 v2, v3, v2
	s_waitcnt vmcnt(18)
	v_lshrrev_b32_e32 v3, 16, v14
	v_mul_f16_sdwa v8, v45, v3 dst_sel:DWORD dst_unused:UNUSED_PAD src0_sel:WORD_1 src1_sel:DWORD
	v_mul_f16_sdwa v9, v45, v14 dst_sel:DWORD dst_unused:UNUSED_PAD src0_sel:WORD_1 src1_sel:DWORD
	v_fma_f16 v8, v45, v14, v8
	v_fma_f16 v3, v45, v3, -v9
	v_pack_b32_f16 v3, v8, v3
	ds_write2_b32 v46, v2, v3 offset0:192 offset1:240
	s_waitcnt vmcnt(17)
	v_lshrrev_b32_e32 v2, 16, v11
	v_mul_f16_sdwa v3, v43, v2 dst_sel:DWORD dst_unused:UNUSED_PAD src0_sel:WORD_1 src1_sel:DWORD
	v_mul_f16_sdwa v8, v43, v11 dst_sel:DWORD dst_unused:UNUSED_PAD src0_sel:WORD_1 src1_sel:DWORD
	v_fma_f16 v3, v43, v11, v3
	v_fma_f16 v2, v43, v2, -v8
	v_pack_b32_f16 v3, v3, v2
	v_add_u32_e32 v16, 0x600, v46
	s_waitcnt vmcnt(16)
	v_lshrrev_b32_e32 v2, 16, v17
	v_mul_f16_sdwa v8, v41, v2 dst_sel:DWORD dst_unused:UNUSED_PAD src0_sel:WORD_1 src1_sel:DWORD
	v_mul_f16_sdwa v9, v41, v17 dst_sel:DWORD dst_unused:UNUSED_PAD src0_sel:WORD_1 src1_sel:DWORD
	v_fma_f16 v8, v41, v17, v8
	v_fma_f16 v2, v41, v2, -v9
	v_pack_b32_f16 v8, v8, v2
	v_add_u32_e32 v2, 0x400, v46
	ds_write2_b32 v2, v3, v8 offset0:32 offset1:80
	s_waitcnt vmcnt(15)
	v_lshrrev_b32_e32 v3, 16, v18
	s_waitcnt vmcnt(14)
	v_mul_f16_sdwa v8, v42, v3 dst_sel:DWORD dst_unused:UNUSED_PAD src0_sel:WORD_1 src1_sel:DWORD
	v_mul_f16_sdwa v9, v42, v18 dst_sel:DWORD dst_unused:UNUSED_PAD src0_sel:WORD_1 src1_sel:DWORD
	v_fma_f16 v8, v42, v18, v8
	v_fma_f16 v3, v42, v3, -v9
	v_pack_b32_f16 v3, v8, v3
	s_waitcnt vmcnt(13)
	v_lshrrev_b32_e32 v8, 16, v19
	v_add_u32_e32 v21, 0x800, v46
	s_mov_b32 s8, 0xb9a8
	s_movk_i32 s9, 0x39a8
	s_waitcnt vmcnt(12)
	v_mul_f16_sdwa v9, v40, v8 dst_sel:DWORD dst_unused:UNUSED_PAD src0_sel:WORD_1 src1_sel:DWORD
	v_mul_f16_sdwa v10, v40, v19 dst_sel:DWORD dst_unused:UNUSED_PAD src0_sel:WORD_1 src1_sel:DWORD
	v_fma_f16 v9, v40, v19, v9
	v_fma_f16 v8, v40, v8, -v10
	v_pack_b32_f16 v8, v9, v8
	ds_write2_b32 v2, v3, v8 offset0:128 offset1:176
	s_waitcnt vmcnt(11)
	v_lshrrev_b32_e32 v3, 16, v20
	s_waitcnt vmcnt(10)
	v_mul_f16_sdwa v8, v38, v3 dst_sel:DWORD dst_unused:UNUSED_PAD src0_sel:WORD_1 src1_sel:DWORD
	v_mul_f16_sdwa v9, v38, v20 dst_sel:DWORD dst_unused:UNUSED_PAD src0_sel:WORD_1 src1_sel:DWORD
	v_fma_f16 v8, v38, v20, v8
	v_fma_f16 v3, v38, v3, -v9
	v_pack_b32_f16 v3, v8, v3
	s_waitcnt vmcnt(9)
	v_lshrrev_b32_e32 v8, 16, v0
	s_waitcnt vmcnt(8)
	v_mul_f16_sdwa v9, v37, v8 dst_sel:DWORD dst_unused:UNUSED_PAD src0_sel:WORD_1 src1_sel:DWORD
	v_fma_f16 v9, v37, v0, v9
	v_mul_f16_sdwa v0, v37, v0 dst_sel:DWORD dst_unused:UNUSED_PAD src0_sel:WORD_1 src1_sel:DWORD
	v_fma_f16 v0, v37, v8, -v0
	v_pack_b32_f16 v0, v9, v0
	ds_write2_b32 v16, v3, v0 offset0:96 offset1:144
	s_waitcnt vmcnt(7)
	v_lshrrev_b32_e32 v0, 16, v6
	s_waitcnt vmcnt(6)
	v_mul_f16_sdwa v3, v36, v0 dst_sel:DWORD dst_unused:UNUSED_PAD src0_sel:WORD_1 src1_sel:DWORD
	v_fma_f16 v3, v36, v6, v3
	v_mul_f16_sdwa v6, v36, v6 dst_sel:DWORD dst_unused:UNUSED_PAD src0_sel:WORD_1 src1_sel:DWORD
	v_fma_f16 v0, v36, v0, -v6
	v_pack_b32_f16 v0, v3, v0
	s_waitcnt vmcnt(5)
	v_lshrrev_b32_e32 v3, 16, v4
	s_waitcnt vmcnt(4)
	v_mul_f16_sdwa v6, v35, v3 dst_sel:DWORD dst_unused:UNUSED_PAD src0_sel:WORD_1 src1_sel:DWORD
	v_fma_f16 v6, v35, v4, v6
	v_mul_f16_sdwa v4, v35, v4 dst_sel:DWORD dst_unused:UNUSED_PAD src0_sel:WORD_1 src1_sel:DWORD
	v_fma_f16 v3, v35, v3, -v4
	v_pack_b32_f16 v3, v6, v3
	ds_write2_b32 v21, v0, v3 offset0:64 offset1:112
	s_waitcnt vmcnt(3)
	v_lshrrev_b32_e32 v0, 16, v5
	s_waitcnt vmcnt(2)
	v_mul_f16_sdwa v3, v33, v0 dst_sel:DWORD dst_unused:UNUSED_PAD src0_sel:WORD_1 src1_sel:DWORD
	v_mul_f16_sdwa v4, v33, v5 dst_sel:DWORD dst_unused:UNUSED_PAD src0_sel:WORD_1 src1_sel:DWORD
	v_fma_f16 v3, v33, v5, v3
	v_fma_f16 v0, v33, v0, -v4
	v_pack_b32_f16 v0, v3, v0
	s_waitcnt vmcnt(1)
	v_lshrrev_b32_e32 v3, 16, v7
	s_waitcnt vmcnt(0)
	v_mul_f16_sdwa v4, v32, v3 dst_sel:DWORD dst_unused:UNUSED_PAD src0_sel:WORD_1 src1_sel:DWORD
	v_mul_f16_sdwa v5, v32, v7 dst_sel:DWORD dst_unused:UNUSED_PAD src0_sel:WORD_1 src1_sel:DWORD
	v_fma_f16 v4, v32, v7, v4
	v_fma_f16 v3, v32, v3, -v5
	v_pack_b32_f16 v3, v4, v3
	ds_write2_b32 v21, v0, v3 offset0:160 offset1:208
	s_waitcnt lgkmcnt(0)
	; wave barrier
	s_waitcnt lgkmcnt(0)
	ds_read2_b32 v[3:4], v46 offset1:48
	ds_read2_b32 v[5:6], v46 offset0:96 offset1:144
	ds_read2_b32 v[7:8], v46 offset0:192 offset1:240
	;; [unrolled: 1-line block ×7, first 2 shown]
	v_lshlrev_b16_e32 v0, 4, v50
	v_lshlrev_b32_e32 v20, 2, v0
	s_waitcnt lgkmcnt(4)
	v_pk_add_f16 v0, v3, v9 neg_lo:[0,1] neg_hi:[0,1]
	s_waitcnt lgkmcnt(2)
	v_pk_add_f16 v9, v7, v13 neg_lo:[0,1] neg_hi:[0,1]
	;; [unrolled: 2-line block ×4, first 2 shown]
	v_pk_fma_f16 v3, v3, 2.0, v0 op_sel_hi:[1,0,1] neg_lo:[0,0,1] neg_hi:[0,0,1]
	v_pk_fma_f16 v7, v7, 2.0, v9 op_sel_hi:[1,0,1] neg_lo:[0,0,1] neg_hi:[0,0,1]
	;; [unrolled: 1-line block ×4, first 2 shown]
	v_pk_add_f16 v7, v3, v7 neg_lo:[0,1] neg_hi:[0,1]
	v_pk_add_f16 v11, v5, v11 neg_lo:[0,1] neg_hi:[0,1]
	;; [unrolled: 1-line block ×3, first 2 shown]
	v_pk_fma_f16 v3, v3, 2.0, v7 op_sel_hi:[1,0,1] neg_lo:[0,0,1] neg_hi:[0,0,1]
	v_sub_f16_sdwa v19, v0, v9 dst_sel:DWORD dst_unused:UNUSED_PAD src0_sel:DWORD src1_sel:WORD_1
	v_lshrrev_b32_e32 v22, 16, v0
	v_pk_fma_f16 v5, v5, 2.0, v11 op_sel_hi:[1,0,1] neg_lo:[0,0,1] neg_hi:[0,0,1]
	v_sub_f16_sdwa v23, v13, v16 dst_sel:DWORD dst_unused:UNUSED_PAD src0_sel:DWORD src1_sel:WORD_1
	v_lshrrev_b32_e32 v24, 16, v13
	v_pk_add_f16 v10, v4, v10 neg_lo:[0,1] neg_hi:[0,1]
	v_pk_add_f16 v14, v8, v14 neg_lo:[0,1] neg_hi:[0,1]
	;; [unrolled: 1-line block ×3, first 2 shown]
	v_add_f16_e32 v9, v22, v9
	v_fma_f16 v0, v0, 2.0, -v19
	v_add_f16_e32 v16, v24, v16
	v_fma_f16 v13, v13, 2.0, -v23
	v_pk_add_f16 v5, v3, v5 neg_lo:[0,1] neg_hi:[0,1]
	v_pk_fma_f16 v4, v4, 2.0, v10 op_sel_hi:[1,0,1] neg_lo:[0,0,1] neg_hi:[0,0,1]
	v_pk_fma_f16 v8, v8, 2.0, v14 op_sel_hi:[1,0,1] neg_lo:[0,0,1] neg_hi:[0,0,1]
	;; [unrolled: 1-line block ×4, first 2 shown]
	v_fma_f16 v22, v22, 2.0, -v9
	v_fma_f16 v24, v24, 2.0, -v16
	v_pk_fma_f16 v29, v3, 2.0, v5 op_sel_hi:[1,0,1] neg_lo:[0,0,1] neg_hi:[0,0,1]
	v_fma_f16 v3, v13, s8, v0
	v_pk_add_f16 v8, v4, v8 neg_lo:[0,1] neg_hi:[0,1]
	v_pk_add_f16 v12, v6, v12 neg_lo:[0,1] neg_hi:[0,1]
	v_fma_f16 v30, v24, s8, v22
	v_fma_f16 v24, v24, s8, v3
	v_lshrrev_b32_e32 v3, 16, v7
	v_pk_fma_f16 v4, v4, 2.0, v8 op_sel_hi:[1,0,1] neg_lo:[0,0,1] neg_hi:[0,0,1]
	v_sub_f16_sdwa v25, v10, v14 dst_sel:DWORD dst_unused:UNUSED_PAD src0_sel:DWORD src1_sel:WORD_1
	v_lshrrev_b32_e32 v26, 16, v10
	v_pk_fma_f16 v6, v6, 2.0, v12 op_sel_hi:[1,0,1] neg_lo:[0,0,1] neg_hi:[0,0,1]
	v_sub_f16_sdwa v27, v17, v18 dst_sel:DWORD dst_unused:UNUSED_PAD src0_sel:DWORD src1_sel:WORD_1
	v_lshrrev_b32_e32 v28, 16, v17
	v_fma_f16 v13, v13, s9, v30
	v_sub_f16_sdwa v30, v7, v11 dst_sel:DWORD dst_unused:UNUSED_PAD src0_sel:DWORD src1_sel:WORD_1
	v_add_f16_e32 v11, v3, v11
	v_add_f16_e32 v14, v26, v14
	v_fma_f16 v10, v10, 2.0, -v25
	v_add_f16_e32 v18, v28, v18
	v_fma_f16 v17, v17, 2.0, -v27
	v_fma_f16 v31, v3, 2.0, -v11
	v_fma_f16 v3, v23, s9, v19
	v_pk_add_f16 v6, v4, v6 neg_lo:[0,1] neg_hi:[0,1]
	v_fma_f16 v26, v26, 2.0, -v14
	v_fma_f16 v28, v28, 2.0, -v18
	v_fma_f16 v53, v16, s9, v9
	v_fma_f16 v16, v16, s8, v3
	v_pk_fma_f16 v3, v4, 2.0, v6 op_sel_hi:[1,0,1] neg_lo:[0,0,1] neg_hi:[0,0,1]
	v_fma_f16 v4, v17, s8, v10
	v_fma_f16 v23, v23, s9, v53
	;; [unrolled: 1-line block ×4, first 2 shown]
	v_lshrrev_b32_e32 v4, 16, v8
	v_fma_f16 v17, v17, s9, v53
	v_sub_f16_sdwa v53, v8, v12 dst_sel:DWORD dst_unused:UNUSED_PAD src0_sel:DWORD src1_sel:WORD_1
	v_add_f16_e32 v12, v4, v12
	v_fma_f16 v0, v0, 2.0, -v24
	v_fma_f16 v10, v10, 2.0, -v28
	;; [unrolled: 1-line block ×3, first 2 shown]
	v_fma_f16 v4, v27, s9, v25
	v_pk_add_f16 v3, v29, v3 neg_lo:[0,1] neg_hi:[0,1]
	s_mov_b32 s12, 0xbb64
	v_fma_f16 v22, v22, 2.0, -v13
	v_fma_f16 v26, v26, 2.0, -v17
	v_fma_f16 v55, v18, s9, v14
	v_fma_f16 v18, v18, s8, v4
	v_pk_fma_f16 v4, v29, 2.0, v3 op_sel_hi:[1,0,1] neg_lo:[0,0,1] neg_hi:[0,0,1]
	v_fma_f16 v29, v10, s12, v0
	s_mov_b32 s13, 0xb61f
	v_fma_f16 v7, v7, 2.0, -v30
	v_fma_f16 v8, v8, 2.0, -v53
	v_fma_f16 v27, v27, s9, v55
	v_fma_f16 v55, v26, s12, v22
	;; [unrolled: 1-line block ×3, first 2 shown]
	v_fma_f16 v19, v19, 2.0, -v16
	v_fma_f16 v25, v25, 2.0, -v18
	s_movk_i32 s14, 0x361f
	v_fma_f16 v29, v0, 2.0, -v26
	v_fma_f16 v0, v8, s8, v7
	v_fma_f16 v9, v9, 2.0, -v23
	v_fma_f16 v14, v14, 2.0, -v27
	v_fma_f16 v10, v10, s14, v55
	v_fma_f16 v55, v54, s8, v31
	;; [unrolled: 1-line block ×5, first 2 shown]
	v_fma_f16 v55, v7, 2.0, -v54
	v_fma_f16 v7, v14, s13, v9
	v_fma_f16 v56, v14, s12, v0
	s_movk_i32 s15, 0x3b64
	v_lshrrev_b32_e32 v0, 16, v5
	v_fma_f16 v25, v25, s15, v7
	v_fma_f16 v7, v19, 2.0, -v56
	v_sub_f16_sdwa v19, v5, v6 dst_sel:DWORD dst_unused:UNUSED_PAD src0_sel:DWORD src1_sel:WORD_1
	v_add_f16_e32 v57, v0, v6
	v_fma_f16 v58, v5, 2.0, -v19
	v_fma_f16 v59, v0, 2.0, -v57
	v_fma_f16 v0, v28, s14, v24
	v_fma_f16 v5, v17, s14, v13
	;; [unrolled: 1-line block ×10, first 2 shown]
	v_fma_f16 v22, v22, 2.0, -v10
	v_fma_f16 v31, v31, 2.0, -v8
	;; [unrolled: 1-line block ×3, first 2 shown]
	v_fma_f16 v0, v27, s13, v0
	v_fma_f16 v14, v18, s14, v5
	v_fma_f16 v24, v24, 2.0, -v17
	v_fma_f16 v13, v13, 2.0, -v28
	;; [unrolled: 1-line block ×6, first 2 shown]
	v_pack_b32_f16 v7, v7, v9
	v_pack_b32_f16 v6, v55, v31
	;; [unrolled: 1-line block ×3, first 2 shown]
	s_waitcnt lgkmcnt(0)
	; wave barrier
	ds_write_b128 v20, v[4:7]
	v_pack_b32_f16 v7, v16, v18
	v_pack_b32_f16 v6, v30, v11
	;; [unrolled: 1-line block ×4, first 2 shown]
	ds_write_b128 v20, v[4:7] offset:16
	v_pack_b32_f16 v6, v56, v25
	v_pack_b32_f16 v5, v54, v8
	;; [unrolled: 1-line block ×3, first 2 shown]
	ds_write_b128 v20, v[3:6] offset:32
	v_pack_b32_f16 v6, v0, v14
	v_pack_b32_f16 v5, v12, v53
	v_pack_b32_f16 v3, v19, v57
	v_pack_b32_f16 v4, v17, v28
	ds_write_b128 v20, v[3:6] offset:48
	s_waitcnt lgkmcnt(0)
	; wave barrier
	s_waitcnt lgkmcnt(0)
	ds_read2_b32 v[6:7], v46 offset1:48
	ds_read2_b32 v[10:11], v21 offset1:48
	ds_read2_b32 v[12:13], v2 offset0:48 offset1:96
	ds_read2_b32 v[4:5], v46 offset0:96 offset1:144
	;; [unrolled: 1-line block ×4, first 2 shown]
	ds_read2st64_b32 v[2:3], v46 offset0:3 offset1:4
	ds_read_b32 v21, v46 offset:2816
	v_add_co_u32_e32 v18, vcc, s0, v46
	v_addc_co_u32_e32 v19, vcc, 0, v1, vcc
	v_cmp_gt_u16_e32 vcc, 16, v50
                                        ; implicit-def: $vgpr23
                                        ; implicit-def: $vgpr22
                                        ; implicit-def: $vgpr24
	s_and_saveexec_b64 s[8:9], vcc
	s_cbranch_execz .LBB0_3
; %bb.2:
	v_add_u32_e32 v0, 0xc0, v46
	ds_read2st64_b32 v[0:1], v0 offset0:3 offset1:7
	ds_read_b32 v22, v46 offset:3008
	s_waitcnt lgkmcnt(1)
	v_lshrrev_b32_e32 v14, 16, v0
	v_lshrrev_b32_e32 v23, 16, v1
	s_waitcnt lgkmcnt(0)
	v_lshrrev_b32_e32 v24, 16, v22
.LBB0_3:
	s_or_b64 exec, exec, s[8:9]
	v_lshlrev_b32_e32 v25, 3, v50
	v_and_b32_e32 v25, 0x78, v25
	global_load_dword v53, v25, s[2:3]
	global_load_dword v55, v25, s[2:3] offset:2
	global_load_dword v54, v25, s[2:3] offset:4
	global_load_ushort v56, v25, s[2:3] offset:6
	v_and_b32_e32 v25, 15, v50
	v_lshlrev_b32_e32 v26, 3, v25
	global_load_ushort v57, v26, s[2:3]
	s_waitcnt lgkmcnt(1)
	v_lshrrev_b32_e32 v30, 16, v3
	v_lshrrev_b32_e32 v31, 16, v10
	;; [unrolled: 1-line block ×7, first 2 shown]
	s_movk_i32 s8, 0x3aee
	s_mov_b32 s9, 0xbaee
	v_lshrrev_b32_e32 v59, 16, v7
	v_lshrrev_b32_e32 v63, 16, v13
	;; [unrolled: 1-line block ×6, first 2 shown]
	s_waitcnt lgkmcnt(0)
	v_lshrrev_b32_e32 v70, 16, v21
	v_lshrrev_b32_e32 v68, 16, v2
	v_add_u32_e32 v26, 48, v50
	s_waitcnt lgkmcnt(0)
	; wave barrier
	v_add_u32_e32 v27, 0x60, v50
	v_add_u32_e32 v28, 0x90, v50
	s_waitcnt vmcnt(4)
	v_mul_f16_sdwa v71, v30, v53 dst_sel:DWORD dst_unused:UNUSED_PAD src0_sel:DWORD src1_sel:WORD_1
	s_waitcnt vmcnt(3)
	v_lshrrev_b32_e32 v58, 16, v55
	s_waitcnt vmcnt(2)
	v_mul_f16_sdwa v73, v31, v54 dst_sel:DWORD dst_unused:UNUSED_PAD src0_sel:DWORD src1_sel:WORD_1
	v_mul_f16_sdwa v72, v3, v53 dst_sel:DWORD dst_unused:UNUSED_PAD src0_sel:DWORD src1_sel:WORD_1
	;; [unrolled: 1-line block ×4, first 2 shown]
	v_mul_f16_e32 v92, v1, v55
	v_fma_f16 v10, v10, v58, -v73
	s_waitcnt vmcnt(0)
	v_fma_f16 v71, v3, v57, -v71
	v_mul_f16_sdwa v84, v8, v53 dst_sel:DWORD dst_unused:UNUSED_PAD src0_sel:DWORD src1_sel:WORD_1
	v_mul_f16_sdwa v87, v69, v53 dst_sel:DWORD dst_unused:UNUSED_PAD src0_sel:DWORD src1_sel:WORD_1
	v_mul_f16_e32 v91, v23, v55
	v_mul_f16_e32 v93, v24, v56
	;; [unrolled: 1-line block ×3, first 2 shown]
	v_fma_f16 v30, v30, v57, v72
	v_fma_f16 v31, v31, v58, v74
	v_fma_f16 v72, v8, v57, -v83
	v_fma_f16 v8, v23, v53, v92
	v_add_f16_e32 v23, v71, v10
	v_mul_f16_sdwa v75, v60, v53 dst_sel:DWORD dst_unused:UNUSED_PAD src0_sel:DWORD src1_sel:WORD_1
	v_mul_f16_sdwa v77, v61, v54 dst_sel:DWORD dst_unused:UNUSED_PAD src0_sel:DWORD src1_sel:WORD_1
	;; [unrolled: 1-line block ×3, first 2 shown]
	v_fma_f16 v73, v9, v57, -v87
	v_fma_f16 v3, v22, v54, -v93
	v_fma_f16 v9, v24, v54, v94
	v_add_f16_e32 v22, v6, v71
	v_sub_f16_e32 v24, v30, v31
	v_add_f16_e32 v74, v29, v30
	v_fma_f16 v6, v23, -0.5, v6
	v_mul_f16_sdwa v76, v12, v53 dst_sel:DWORD dst_unused:UNUSED_PAD src0_sel:DWORD src1_sel:WORD_1
	v_mul_f16_sdwa v78, v11, v54 dst_sel:DWORD dst_unused:UNUSED_PAD src0_sel:DWORD src1_sel:WORD_1
	v_fma_f16 v11, v11, v58, -v77
	v_fma_f16 v12, v12, v57, -v75
	v_add_f16_e32 v23, v74, v31
	v_fma_f16 v74, v24, s8, v6
	v_fma_f16 v6, v24, s9, v6
	v_add_f16_e32 v24, v30, v31
	v_fma_f16 v60, v60, v57, v76
	v_fma_f16 v61, v61, v58, v78
	v_add_f16_e32 v22, v22, v10
	v_fma_f16 v24, v24, -0.5, v29
	v_sub_f16_e32 v10, v71, v10
	v_add_f16_e32 v30, v12, v11
	v_fma_f16 v29, v10, s9, v24
	v_fma_f16 v10, v10, s8, v24
	v_add_f16_e32 v24, v7, v12
	v_fma_f16 v7, v30, -0.5, v7
	v_sub_f16_e32 v30, v60, v61
	v_mul_f16_sdwa v79, v63, v53 dst_sel:DWORD dst_unused:UNUSED_PAD src0_sel:DWORD src1_sel:WORD_1
	v_fma_f16 v31, v30, s8, v7
	v_fma_f16 v7, v30, s9, v7
	v_add_f16_e32 v30, v59, v60
	v_add_f16_e32 v60, v60, v61
	v_mul_f16_sdwa v80, v13, v53 dst_sel:DWORD dst_unused:UNUSED_PAD src0_sel:DWORD src1_sel:WORD_1
	v_mul_f16_sdwa v81, v64, v54 dst_sel:DWORD dst_unused:UNUSED_PAD src0_sel:DWORD src1_sel:WORD_1
	v_fma_f16 v13, v13, v57, -v79
	v_add_f16_e32 v24, v24, v11
	v_fma_f16 v59, v60, -0.5, v59
	v_sub_f16_e32 v11, v12, v11
	v_mul_f16_sdwa v82, v16, v54 dst_sel:DWORD dst_unused:UNUSED_PAD src0_sel:DWORD src1_sel:WORD_1
	v_fma_f16 v16, v16, v58, -v81
	v_fma_f16 v12, v11, s9, v59
	v_fma_f16 v11, v11, s8, v59
	v_add_f16_e32 v59, v4, v13
	v_fma_f16 v63, v63, v57, v80
	v_fma_f16 v64, v64, v58, v82
	v_add_f16_e32 v71, v59, v16
	v_add_f16_e32 v59, v13, v16
	v_fma_f16 v4, v59, -0.5, v4
	v_sub_f16_e32 v59, v63, v64
	v_fma_f16 v75, v59, s8, v4
	v_fma_f16 v4, v59, s9, v4
	v_add_f16_e32 v59, v62, v63
	v_add_f16_e32 v76, v59, v64
	;; [unrolled: 1-line block ×3, first 2 shown]
	v_mul_f16_sdwa v85, v67, v54 dst_sel:DWORD dst_unused:UNUSED_PAD src0_sel:DWORD src1_sel:WORD_1
	v_fma_f16 v59, v59, -0.5, v62
	v_sub_f16_e32 v13, v13, v16
	v_mul_f16_sdwa v86, v17, v54 dst_sel:DWORD dst_unused:UNUSED_PAD src0_sel:DWORD src1_sel:WORD_1
	v_fma_f16 v17, v17, v58, -v85
	v_fma_f16 v16, v13, s9, v59
	v_fma_f16 v13, v13, s8, v59
	v_add_f16_e32 v59, v5, v72
	v_fma_f16 v66, v66, v57, v84
	v_fma_f16 v67, v67, v58, v86
	v_add_f16_e32 v77, v59, v17
	v_add_f16_e32 v59, v72, v17
	v_fma_f16 v5, v59, -0.5, v5
	v_sub_f16_e32 v59, v66, v67
	v_fma_f16 v78, v59, s8, v5
	v_fma_f16 v5, v59, s9, v5
	v_add_f16_e32 v59, v65, v66
	v_add_f16_e32 v79, v59, v67
	;; [unrolled: 1-line block ×3, first 2 shown]
	v_mul_f16_sdwa v89, v70, v54 dst_sel:DWORD dst_unused:UNUSED_PAD src0_sel:DWORD src1_sel:WORD_1
	v_fma_f16 v59, v59, -0.5, v65
	v_sub_f16_e32 v17, v72, v17
	v_mul_f16_sdwa v90, v21, v54 dst_sel:DWORD dst_unused:UNUSED_PAD src0_sel:DWORD src1_sel:WORD_1
	v_fma_f16 v21, v21, v58, -v89
	v_fma_f16 v66, v17, s9, v59
	v_fma_f16 v67, v17, s8, v59
	v_add_f16_e32 v17, v2, v73
	v_fma_f16 v69, v69, v57, v88
	v_fma_f16 v70, v70, v58, v90
	v_add_f16_e32 v72, v17, v21
	v_add_f16_e32 v17, v73, v21
	v_fma_f16 v2, v17, -0.5, v2
	v_sub_f16_e32 v17, v69, v70
	v_fma_f16 v80, v17, s8, v2
	v_fma_f16 v2, v17, s9, v2
	v_add_f16_e32 v17, v68, v69
	v_add_f16_e32 v81, v17, v70
	;; [unrolled: 1-line block ×3, first 2 shown]
	v_fma_f16 v1, v1, v53, -v91
	v_fma_f16 v17, v17, -0.5, v68
	v_sub_f16_e32 v21, v73, v21
	v_fma_f16 v68, v21, s9, v17
	v_fma_f16 v21, v21, s8, v17
	v_add_f16_e32 v17, v1, v3
	v_fma_f16 v59, v17, -0.5, v0
	v_sub_f16_e32 v60, v8, v9
	v_fma_f16 v17, v60, s8, v59
	v_fma_f16 v59, v60, s9, v59
	v_add_f16_e32 v60, v8, v9
	v_add_f16_e32 v30, v30, v61
	v_fma_f16 v61, v60, -0.5, v14
	v_sub_f16_e32 v62, v1, v3
	v_fma_f16 v60, v62, s9, v61
	v_fma_f16 v61, v62, s8, v61
	v_lshrrev_b32_e32 v62, 4, v50
	v_mul_u32_u24_e32 v62, 48, v62
	v_or_b32_e32 v62, v62, v25
	v_lshlrev_b32_e32 v62, 2, v62
	v_pack_b32_f16 v6, v6, v10
	ds_write_b32 v62, v6 offset:128
	v_lshrrev_b32_e32 v6, 4, v26
	v_mul_u32_u24_e32 v6, 48, v6
	v_or_b32_e32 v6, v6, v25
	v_pack_b32_f16 v22, v22, v23
	v_pack_b32_f16 v23, v74, v29
	v_lshlrev_b32_e32 v63, 2, v6
	v_pack_b32_f16 v6, v24, v30
	v_pack_b32_f16 v10, v31, v12
	ds_write2_b32 v62, v22, v23 offset1:16
	ds_write2_b32 v63, v6, v10 offset1:16
	v_pack_b32_f16 v6, v7, v11
	ds_write_b32 v63, v6 offset:128
	v_lshrrev_b32_e32 v6, 4, v27
	v_mul_u32_u24_e32 v6, 48, v6
	v_or_b32_e32 v6, v6, v25
	v_lshlrev_b32_e32 v64, 2, v6
	v_pack_b32_f16 v4, v4, v13
	ds_write_b32 v64, v4 offset:128
	v_lshrrev_b32_e32 v4, 4, v28
	v_mul_u32_u24_e32 v4, 48, v4
	v_pack_b32_f16 v6, v71, v76
	v_pack_b32_f16 v7, v75, v16
	v_or_b32_e32 v4, v4, v25
	ds_write2_b32 v64, v6, v7 offset1:16
	v_lshlrev_b32_e32 v65, 2, v4
	v_pack_b32_f16 v4, v77, v79
	v_pack_b32_f16 v6, v78, v66
	ds_write2_b32 v65, v4, v6 offset1:16
	v_pack_b32_f16 v4, v5, v67
	ds_write_b32 v65, v4 offset:128
	v_lshrrev_b32_e32 v4, 4, v44
	v_mul_u32_u24_e32 v4, 48, v4
	v_or_b32_e32 v4, v4, v25
	v_lshlrev_b32_e32 v66, 2, v4
	v_pack_b32_f16 v4, v72, v81
	v_pack_b32_f16 v5, v80, v68
	;; [unrolled: 1-line block ×3, first 2 shown]
	ds_write2_b32 v66, v4, v5 offset1:16
	ds_write_b32 v66, v2 offset:128
	s_and_saveexec_b64 s[8:9], vcc
	s_cbranch_execz .LBB0_5
; %bb.4:
	v_add_f16_e32 v2, v14, v8
	v_add_f16_e32 v0, v0, v1
	;; [unrolled: 1-line block ×4, first 2 shown]
	s_mov_b32 s12, 0x5040100
	v_pack_b32_f16 v0, v0, v2
	v_perm_b32 v1, v60, v17, s12
	v_add_u32_e32 v2, 0x800, v46
	ds_write2_b32 v2, v0, v1 offset0:208 offset1:224
	v_perm_b32 v0, v61, v59, s12
	ds_write_b32 v46, v0 offset:3008
.LBB0_5:
	s_or_b64 exec, exec, s[8:9]
	v_mad_u64_u32 v[21:22], s[2:3], v50, 60, s[2:3]
	s_waitcnt lgkmcnt(0)
	; wave barrier
	s_waitcnt lgkmcnt(0)
	global_load_dwordx4 v[0:3], v[21:22], off offset:128
	global_load_dwordx4 v[4:7], v[21:22], off offset:144
	;; [unrolled: 1-line block ×3, first 2 shown]
	global_load_dwordx3 v[12:14], v[21:22], off offset:176
	v_add_u32_e32 v24, 0x400, v46
	ds_read2_b32 v[21:22], v46 offset1:48
	ds_read2_b32 v[26:27], v46 offset0:96 offset1:144
	ds_read2_b32 v[28:29], v46 offset0:192 offset1:240
	v_add_u32_e32 v16, 0x600, v46
	v_add_u32_e32 v25, 0x800, v46
	ds_read2_b32 v[30:31], v24 offset0:32 offset1:80
	ds_read2_b32 v[67:68], v24 offset0:128 offset1:176
	;; [unrolled: 1-line block ×5, first 2 shown]
	s_waitcnt lgkmcnt(7)
	v_lshrrev_b32_e32 v75, 16, v22
	s_waitcnt lgkmcnt(6)
	v_lshrrev_b32_e32 v76, 16, v26
	;; [unrolled: 2-line block ×5, first 2 shown]
	v_lshrrev_b32_e32 v82, 16, v67
	v_lshrrev_b32_e32 v84, 16, v69
	;; [unrolled: 1-line block ×11, first 2 shown]
	s_mov_b32 s2, 0xb9a8
	s_movk_i32 s3, 0x39a8
	s_mov_b32 s12, 0xbb64
	s_mov_b32 s8, 0xb61f
	s_movk_i32 s9, 0x361f
	s_movk_i32 s13, 0x3b64
	s_add_u32 s0, s0, 0xc00
	s_addc_u32 s1, s1, 0
	s_waitcnt vmcnt(3)
	v_mul_f16_sdwa v90, v75, v0 dst_sel:DWORD dst_unused:UNUSED_PAD src0_sel:DWORD src1_sel:WORD_1
	v_mul_f16_sdwa v91, v22, v0 dst_sel:DWORD dst_unused:UNUSED_PAD src0_sel:DWORD src1_sel:WORD_1
	v_fma_f16 v22, v22, v0, -v90
	s_waitcnt vmcnt(0)
	v_mul_f16_sdwa v90, v88, v13 dst_sel:DWORD dst_unused:UNUSED_PAD src0_sel:DWORD src1_sel:WORD_1
	v_fma_f16 v90, v73, v13, -v90
	v_mul_f16_sdwa v73, v73, v13 dst_sel:DWORD dst_unused:UNUSED_PAD src0_sel:DWORD src1_sel:WORD_1
	v_mul_f16_sdwa v92, v76, v1 dst_sel:DWORD dst_unused:UNUSED_PAD src0_sel:DWORD src1_sel:WORD_1
	v_mul_f16_sdwa v93, v26, v1 dst_sel:DWORD dst_unused:UNUSED_PAD src0_sel:DWORD src1_sel:WORD_1
	v_mul_f16_sdwa v96, v78, v3 dst_sel:DWORD dst_unused:UNUSED_PAD src0_sel:DWORD src1_sel:WORD_1
	v_mul_f16_sdwa v97, v28, v3 dst_sel:DWORD dst_unused:UNUSED_PAD src0_sel:DWORD src1_sel:WORD_1
	v_mul_f16_sdwa v100, v80, v5 dst_sel:DWORD dst_unused:UNUSED_PAD src0_sel:DWORD src1_sel:WORD_1
	v_mul_f16_sdwa v101, v30, v5 dst_sel:DWORD dst_unused:UNUSED_PAD src0_sel:DWORD src1_sel:WORD_1
	v_mul_f16_sdwa v104, v82, v7 dst_sel:DWORD dst_unused:UNUSED_PAD src0_sel:DWORD src1_sel:WORD_1
	v_mul_f16_sdwa v105, v67, v7 dst_sel:DWORD dst_unused:UNUSED_PAD src0_sel:DWORD src1_sel:WORD_1
	v_mul_f16_sdwa v108, v84, v9 dst_sel:DWORD dst_unused:UNUSED_PAD src0_sel:DWORD src1_sel:WORD_1
	v_mul_f16_sdwa v109, v69, v9 dst_sel:DWORD dst_unused:UNUSED_PAD src0_sel:DWORD src1_sel:WORD_1
	v_mul_f16_sdwa v112, v86, v11 dst_sel:DWORD dst_unused:UNUSED_PAD src0_sel:DWORD src1_sel:WORD_1
	v_mul_f16_sdwa v113, v71, v11 dst_sel:DWORD dst_unused:UNUSED_PAD src0_sel:DWORD src1_sel:WORD_1
	v_fma_f16 v73, v88, v13, v73
	v_mul_f16_sdwa v88, v89, v14 dst_sel:DWORD dst_unused:UNUSED_PAD src0_sel:DWORD src1_sel:WORD_1
	v_fma_f16 v26, v26, v1, -v92
	v_fma_f16 v28, v28, v3, -v96
	v_fma_f16 v76, v76, v1, v93
	v_fma_f16 v78, v78, v3, v97
	v_fma_f16 v80, v80, v5, v101
	v_fma_f16 v30, v30, v5, -v100
	v_fma_f16 v67, v67, v7, -v104
	v_fma_f16 v82, v82, v7, v105
	v_fma_f16 v69, v69, v9, -v108
	v_fma_f16 v84, v84, v9, v109
	;; [unrolled: 2-line block ×3, first 2 shown]
	v_fma_f16 v88, v74, v14, -v88
	v_mul_f16_sdwa v74, v74, v14 dst_sel:DWORD dst_unused:UNUSED_PAD src0_sel:DWORD src1_sel:WORD_1
	v_mul_f16_sdwa v94, v77, v2 dst_sel:DWORD dst_unused:UNUSED_PAD src0_sel:DWORD src1_sel:WORD_1
	;; [unrolled: 1-line block ×13, first 2 shown]
	v_fma_f16 v74, v89, v14, v74
	v_sub_f16_e32 v67, v21, v67
	v_sub_f16_e32 v82, v23, v82
	;; [unrolled: 1-line block ×8, first 2 shown]
	v_fma_f16 v27, v27, v2, -v94
	v_fma_f16 v29, v29, v4, -v98
	v_fma_f16 v75, v75, v0, v91
	v_fma_f16 v77, v77, v2, v95
	;; [unrolled: 1-line block ×3, first 2 shown]
	v_fma_f16 v31, v31, v6, -v102
	v_fma_f16 v81, v81, v6, v103
	v_fma_f16 v68, v68, v8, -v106
	v_fma_f16 v83, v83, v8, v107
	;; [unrolled: 2-line block ×4, first 2 shown]
	v_fma_f16 v28, v28, 2.0, -v71
	v_fma_f16 v78, v78, 2.0, -v86
	;; [unrolled: 1-line block ×4, first 2 shown]
	v_sub_f16_e32 v86, v67, v86
	v_add_f16_e32 v71, v82, v71
	v_sub_f16_e32 v73, v69, v73
	v_add_f16_e32 v89, v84, v89
	v_fma_f16 v21, v21, 2.0, -v67
	v_fma_f16 v23, v23, 2.0, -v82
	;; [unrolled: 1-line block ×4, first 2 shown]
	v_sub_f16_e32 v68, v22, v68
	v_sub_f16_e32 v83, v75, v83
	;; [unrolled: 1-line block ×8, first 2 shown]
	v_fma_f16 v67, v67, 2.0, -v86
	v_fma_f16 v82, v82, 2.0, -v71
	;; [unrolled: 1-line block ×8, first 2 shown]
	v_sub_f16_e32 v87, v68, v87
	v_add_f16_e32 v72, v83, v72
	v_sub_f16_e32 v74, v70, v74
	v_add_f16_e32 v88, v85, v88
	v_fma_f16 v90, v69, s2, v67
	v_fma_f16 v91, v84, s2, v82
	v_fma_f16 v22, v22, 2.0, -v68
	v_fma_f16 v75, v75, 2.0, -v83
	;; [unrolled: 1-line block ×8, first 2 shown]
	v_fma_f16 v84, v84, s2, v90
	v_fma_f16 v69, v69, s3, v91
	;; [unrolled: 1-line block ×8, first 2 shown]
	v_sub_f16_e32 v28, v21, v28
	v_sub_f16_e32 v78, v23, v78
	;; [unrolled: 1-line block ×8, first 2 shown]
	v_fma_f16 v85, v85, s2, v90
	v_fma_f16 v70, v70, s3, v91
	v_fma_f16 v26, v26, 2.0, -v30
	v_fma_f16 v76, v76, 2.0, -v80
	v_fma_f16 v27, v27, 2.0, -v31
	v_fma_f16 v77, v77, 2.0, -v81
	v_fma_f16 v67, v67, 2.0, -v84
	v_fma_f16 v82, v82, 2.0, -v69
	v_sub_f16_e32 v80, v28, v80
	v_add_f16_e32 v30, v78, v30
	v_fma_f16 v68, v68, 2.0, -v85
	v_fma_f16 v83, v83, 2.0, -v70
	v_sub_f16_e32 v81, v29, v81
	v_add_f16_e32 v31, v79, v31
	v_fma_f16 v90, v74, s3, v87
	v_fma_f16 v91, v88, s3, v72
	v_fma_f16 v21, v21, 2.0, -v28
	v_fma_f16 v23, v23, 2.0, -v78
	;; [unrolled: 1-line block ×8, first 2 shown]
	v_fma_f16 v88, v88, s2, v90
	v_fma_f16 v74, v74, s3, v91
	;; [unrolled: 1-line block ×4, first 2 shown]
	v_sub_f16_e32 v26, v21, v26
	v_sub_f16_e32 v76, v23, v76
	v_fma_f16 v86, v86, 2.0, -v89
	v_fma_f16 v71, v71, 2.0, -v73
	v_sub_f16_e32 v27, v22, v27
	v_sub_f16_e32 v77, v75, v77
	v_fma_f16 v87, v87, 2.0, -v88
	v_fma_f16 v72, v72, 2.0, -v74
	v_fma_f16 v83, v83, s8, v90
	v_fma_f16 v68, v68, s9, v91
	;; [unrolled: 1-line block ×4, first 2 shown]
	v_fma_f16 v21, v21, 2.0, -v26
	v_fma_f16 v23, v23, 2.0, -v76
	;; [unrolled: 1-line block ×4, first 2 shown]
	v_fma_f16 v79, v79, s2, v90
	v_fma_f16 v29, v29, s3, v91
	;; [unrolled: 1-line block ×4, first 2 shown]
	v_sub_f16_e32 v22, v21, v22
	v_sub_f16_e32 v75, v23, v75
	v_fma_f16 v72, v72, s12, v90
	v_fma_f16 v87, v87, s13, v91
	;; [unrolled: 1-line block ×4, first 2 shown]
	v_fma_f16 v21, v21, 2.0, -v22
	v_fma_f16 v23, v23, 2.0, -v75
	;; [unrolled: 1-line block ×4, first 2 shown]
	v_fma_f16 v70, v70, s12, v90
	v_fma_f16 v85, v85, s13, v91
	v_fma_f16 v90, v81, s3, v80
	v_fma_f16 v91, v31, s3, v30
	v_fma_f16 v28, v28, 2.0, -v79
	v_fma_f16 v78, v78, 2.0, -v29
	;; [unrolled: 1-line block ×4, first 2 shown]
	v_sub_f16_e32 v77, v26, v77
	v_add_f16_e32 v27, v76, v27
	v_fma_f16 v31, v31, s2, v90
	v_fma_f16 v81, v81, s3, v91
	;; [unrolled: 1-line block ×4, first 2 shown]
	v_pack_b32_f16 v21, v21, v23
	v_pack_b32_f16 v23, v67, v82
	v_fma_f16 v26, v26, 2.0, -v77
	v_fma_f16 v76, v76, 2.0, -v27
	;; [unrolled: 1-line block ×4, first 2 shown]
	v_fma_f16 v74, v74, s8, v90
	v_fma_f16 v88, v88, s9, v91
	ds_write2_b32 v46, v21, v23 offset1:48
	v_pack_b32_f16 v21, v28, v78
	v_pack_b32_f16 v23, v86, v71
	v_fma_f16 v80, v80, 2.0, -v31
	v_fma_f16 v30, v30, 2.0, -v81
	;; [unrolled: 1-line block ×4, first 2 shown]
	ds_write2_b32 v46, v21, v23 offset0:96 offset1:144
	v_pack_b32_f16 v21, v26, v76
	v_pack_b32_f16 v23, v84, v69
	ds_write2_b32 v46, v21, v23 offset0:192 offset1:240
	v_pack_b32_f16 v21, v80, v30
	v_pack_b32_f16 v23, v89, v73
	;; [unrolled: 3-line block ×6, first 2 shown]
	ds_write2_b32 v25, v21, v22 offset0:160 offset1:208
	s_waitcnt lgkmcnt(0)
	; wave barrier
	s_waitcnt lgkmcnt(0)
	global_load_dword v21, v[18:19], off offset:3072
	v_lshlrev_b32_e32 v22, 2, v50
	global_load_dword v23, v22, s[0:1] offset:192
	global_load_dword v26, v22, s[0:1] offset:384
	;; [unrolled: 1-line block ×9, first 2 shown]
	ds_read2_b32 v[18:19], v46 offset1:48
	global_load_dword v69, v22, s[0:1] offset:1920
	s_waitcnt lgkmcnt(0)
	v_lshrrev_b32_e32 v70, 16, v18
	s_waitcnt vmcnt(10)
	v_mul_f16_sdwa v71, v70, v21 dst_sel:DWORD dst_unused:UNUSED_PAD src0_sel:DWORD src1_sel:WORD_1
	v_fma_f16 v71, v18, v21, -v71
	v_mul_f16_sdwa v18, v18, v21 dst_sel:DWORD dst_unused:UNUSED_PAD src0_sel:DWORD src1_sel:WORD_1
	v_fma_f16 v18, v70, v21, v18
	global_load_dword v70, v22, s[0:1] offset:2112
	v_lshrrev_b32_e32 v21, 16, v19
	v_pack_b32_f16 v18, v71, v18
	s_waitcnt vmcnt(10)
	v_mul_f16_sdwa v71, v21, v23 dst_sel:DWORD dst_unused:UNUSED_PAD src0_sel:DWORD src1_sel:WORD_1
	v_fma_f16 v71, v19, v23, -v71
	v_mul_f16_sdwa v19, v19, v23 dst_sel:DWORD dst_unused:UNUSED_PAD src0_sel:DWORD src1_sel:WORD_1
	v_fma_f16 v19, v21, v23, v19
	global_load_dword v23, v22, s[0:1] offset:2304
	v_pack_b32_f16 v19, v71, v19
	global_load_dword v71, v22, s[0:1] offset:2496
	ds_write2_b32 v46, v18, v19 offset1:48
	ds_read2_b32 v[18:19], v46 offset0:96 offset1:144
	s_waitcnt lgkmcnt(0)
	v_lshrrev_b32_e32 v21, 16, v18
	s_waitcnt vmcnt(11)
	v_mul_f16_sdwa v72, v21, v26 dst_sel:DWORD dst_unused:UNUSED_PAD src0_sel:DWORD src1_sel:WORD_1
	v_fma_f16 v72, v18, v26, -v72
	v_mul_f16_sdwa v18, v18, v26 dst_sel:DWORD dst_unused:UNUSED_PAD src0_sel:DWORD src1_sel:WORD_1
	v_fma_f16 v18, v21, v26, v18
	v_pack_b32_f16 v21, v72, v18
	global_load_dword v72, v22, s[0:1] offset:2688
	v_lshrrev_b32_e32 v26, 16, v19
	s_waitcnt vmcnt(11)
	v_mul_f16_sdwa v18, v26, v27 dst_sel:DWORD dst_unused:UNUSED_PAD src0_sel:DWORD src1_sel:WORD_1
	v_mul_f16_sdwa v74, v19, v27 dst_sel:DWORD dst_unused:UNUSED_PAD src0_sel:DWORD src1_sel:WORD_1
	v_fma_f16 v73, v19, v27, -v18
	v_fma_f16 v26, v26, v27, v74
	global_load_dword v27, v22, s[0:1] offset:2880
	ds_read2_b32 v[18:19], v46 offset0:192 offset1:240
	v_pack_b32_f16 v22, v73, v26
	ds_write2_b32 v46, v21, v22 offset0:96 offset1:144
	s_waitcnt lgkmcnt(1)
	v_lshrrev_b32_e32 v21, 16, v18
	s_waitcnt vmcnt(11)
	v_mul_f16_sdwa v22, v21, v28 dst_sel:DWORD dst_unused:UNUSED_PAD src0_sel:DWORD src1_sel:WORD_1
	v_fma_f16 v22, v18, v28, -v22
	v_mul_f16_sdwa v18, v18, v28 dst_sel:DWORD dst_unused:UNUSED_PAD src0_sel:DWORD src1_sel:WORD_1
	v_lshrrev_b32_e32 v26, 16, v19
	v_fma_f16 v18, v21, v28, v18
	s_waitcnt vmcnt(10)
	v_mul_f16_sdwa v21, v26, v29 dst_sel:DWORD dst_unused:UNUSED_PAD src0_sel:DWORD src1_sel:WORD_1
	v_pack_b32_f16 v18, v22, v18
	v_fma_f16 v28, v19, v29, -v21
	ds_read2_b32 v[21:22], v24 offset0:32 offset1:80
	v_mul_f16_sdwa v19, v19, v29 dst_sel:DWORD dst_unused:UNUSED_PAD src0_sel:DWORD src1_sel:WORD_1
	v_fma_f16 v19, v26, v29, v19
	v_pack_b32_f16 v19, v28, v19
	ds_write2_b32 v46, v18, v19 offset0:192 offset1:240
	s_waitcnt lgkmcnt(1)
	v_lshrrev_b32_e32 v18, 16, v21
	s_waitcnt vmcnt(9)
	v_mul_f16_sdwa v19, v18, v30 dst_sel:DWORD dst_unused:UNUSED_PAD src0_sel:DWORD src1_sel:WORD_1
	v_fma_f16 v19, v21, v30, -v19
	v_mul_f16_sdwa v21, v21, v30 dst_sel:DWORD dst_unused:UNUSED_PAD src0_sel:DWORD src1_sel:WORD_1
	v_fma_f16 v18, v18, v30, v21
	v_lshrrev_b32_e32 v26, 16, v22
	v_pack_b32_f16 v21, v19, v18
	s_waitcnt vmcnt(8)
	v_mul_f16_sdwa v18, v26, v31 dst_sel:DWORD dst_unused:UNUSED_PAD src0_sel:DWORD src1_sel:WORD_1
	v_fma_f16 v28, v22, v31, -v18
	ds_read2_b32 v[18:19], v24 offset0:128 offset1:176
	v_mul_f16_sdwa v22, v22, v31 dst_sel:DWORD dst_unused:UNUSED_PAD src0_sel:DWORD src1_sel:WORD_1
	v_fma_f16 v22, v26, v31, v22
	v_pack_b32_f16 v22, v28, v22
	ds_write2_b32 v24, v21, v22 offset0:32 offset1:80
	s_waitcnt lgkmcnt(1)
	v_lshrrev_b32_e32 v21, 16, v18
	s_waitcnt vmcnt(7)
	v_mul_f16_sdwa v22, v21, v67 dst_sel:DWORD dst_unused:UNUSED_PAD src0_sel:DWORD src1_sel:WORD_1
	v_fma_f16 v22, v18, v67, -v22
	v_mul_f16_sdwa v18, v18, v67 dst_sel:DWORD dst_unused:UNUSED_PAD src0_sel:DWORD src1_sel:WORD_1
	v_lshrrev_b32_e32 v26, 16, v19
	v_fma_f16 v18, v21, v67, v18
	s_waitcnt vmcnt(6)
	v_mul_f16_sdwa v21, v26, v68 dst_sel:DWORD dst_unused:UNUSED_PAD src0_sel:DWORD src1_sel:WORD_1
	v_pack_b32_f16 v18, v22, v18
	v_fma_f16 v28, v19, v68, -v21
	ds_read2_b32 v[21:22], v16 offset0:96 offset1:144
	v_mul_f16_sdwa v19, v19, v68 dst_sel:DWORD dst_unused:UNUSED_PAD src0_sel:DWORD src1_sel:WORD_1
	v_fma_f16 v19, v26, v68, v19
	v_pack_b32_f16 v19, v28, v19
	ds_write2_b32 v24, v18, v19 offset0:128 offset1:176
	s_waitcnt lgkmcnt(1)
	v_lshrrev_b32_e32 v18, 16, v21
	s_waitcnt vmcnt(5)
	v_mul_f16_sdwa v19, v18, v69 dst_sel:DWORD dst_unused:UNUSED_PAD src0_sel:DWORD src1_sel:WORD_1
	v_fma_f16 v19, v21, v69, -v19
	v_mul_f16_sdwa v21, v21, v69 dst_sel:DWORD dst_unused:UNUSED_PAD src0_sel:DWORD src1_sel:WORD_1
	v_fma_f16 v18, v18, v69, v21
	v_lshrrev_b32_e32 v26, 16, v22
	v_pack_b32_f16 v21, v19, v18
	s_waitcnt vmcnt(4)
	v_mul_f16_sdwa v18, v26, v70 dst_sel:DWORD dst_unused:UNUSED_PAD src0_sel:DWORD src1_sel:WORD_1
	v_fma_f16 v28, v22, v70, -v18
	ds_read2_b32 v[18:19], v25 offset0:64 offset1:112
	v_mul_f16_sdwa v22, v22, v70 dst_sel:DWORD dst_unused:UNUSED_PAD src0_sel:DWORD src1_sel:WORD_1
	v_fma_f16 v22, v26, v70, v22
	v_pack_b32_f16 v22, v28, v22
	ds_write2_b32 v16, v21, v22 offset0:96 offset1:144
	s_waitcnt lgkmcnt(1)
	v_lshrrev_b32_e32 v21, 16, v18
	s_waitcnt vmcnt(3)
	v_mul_f16_sdwa v22, v21, v23 dst_sel:DWORD dst_unused:UNUSED_PAD src0_sel:DWORD src1_sel:WORD_1
	v_fma_f16 v22, v18, v23, -v22
	v_mul_f16_sdwa v18, v18, v23 dst_sel:DWORD dst_unused:UNUSED_PAD src0_sel:DWORD src1_sel:WORD_1
	v_fma_f16 v18, v21, v23, v18
	v_lshrrev_b32_e32 v23, 16, v19
	s_waitcnt vmcnt(2)
	v_mul_f16_sdwa v21, v23, v71 dst_sel:DWORD dst_unused:UNUSED_PAD src0_sel:DWORD src1_sel:WORD_1
	v_pack_b32_f16 v18, v22, v18
	v_fma_f16 v26, v19, v71, -v21
	ds_read2_b32 v[21:22], v25 offset0:160 offset1:208
	v_mul_f16_sdwa v19, v19, v71 dst_sel:DWORD dst_unused:UNUSED_PAD src0_sel:DWORD src1_sel:WORD_1
	v_fma_f16 v19, v23, v71, v19
	v_pack_b32_f16 v19, v26, v19
	ds_write2_b32 v25, v18, v19 offset0:64 offset1:112
	s_waitcnt lgkmcnt(1)
	v_lshrrev_b32_e32 v18, 16, v21
	s_waitcnt vmcnt(1)
	v_mul_f16_sdwa v19, v18, v72 dst_sel:DWORD dst_unused:UNUSED_PAD src0_sel:DWORD src1_sel:WORD_1
	v_fma_f16 v19, v21, v72, -v19
	v_mul_f16_sdwa v21, v21, v72 dst_sel:DWORD dst_unused:UNUSED_PAD src0_sel:DWORD src1_sel:WORD_1
	v_fma_f16 v18, v18, v72, v21
	v_pack_b32_f16 v18, v19, v18
	v_lshrrev_b32_e32 v19, 16, v22
	s_waitcnt vmcnt(0)
	v_mul_f16_sdwa v21, v19, v27 dst_sel:DWORD dst_unused:UNUSED_PAD src0_sel:DWORD src1_sel:WORD_1
	v_fma_f16 v21, v22, v27, -v21
	v_mul_f16_sdwa v22, v22, v27 dst_sel:DWORD dst_unused:UNUSED_PAD src0_sel:DWORD src1_sel:WORD_1
	v_fma_f16 v19, v19, v27, v22
	v_pack_b32_f16 v19, v21, v19
	ds_write2_b32 v25, v18, v19 offset0:160 offset1:208
	s_waitcnt lgkmcnt(0)
	; wave barrier
	s_waitcnt lgkmcnt(0)
	ds_read2_b32 v[18:19], v46 offset1:48
	ds_read2_b32 v[21:22], v46 offset0:96 offset1:144
	ds_read2_b32 v[26:27], v46 offset0:192 offset1:240
	;; [unrolled: 1-line block ×7, first 2 shown]
	s_waitcnt lgkmcnt(4)
	v_pk_add_f16 v16, v18, v28 neg_lo:[0,1] neg_hi:[0,1]
	v_pk_fma_f16 v18, v18, 2.0, v16 op_sel_hi:[1,0,1] neg_lo:[0,0,1] neg_hi:[0,0,1]
	s_waitcnt lgkmcnt(2)
	v_pk_add_f16 v23, v26, v67 neg_lo:[0,1] neg_hi:[0,1]
	s_waitcnt lgkmcnt(1)
	v_pk_add_f16 v28, v21, v69 neg_lo:[0,1] neg_hi:[0,1]
	;; [unrolled: 2-line block ×3, first 2 shown]
	v_pk_add_f16 v69, v22, v70 neg_lo:[0,1] neg_hi:[0,1]
	v_pk_add_f16 v70, v31, v72 neg_lo:[0,1] neg_hi:[0,1]
	v_add_f16_sdwa v71, v16, v23 dst_sel:DWORD dst_unused:UNUSED_PAD src0_sel:DWORD src1_sel:WORD_1
	v_lshrrev_b32_e32 v72, 16, v16
	v_add_f16_sdwa v73, v28, v67 dst_sel:DWORD dst_unused:UNUSED_PAD src0_sel:DWORD src1_sel:WORD_1
	v_lshrrev_b32_e32 v74, 16, v28
	v_pk_fma_f16 v26, v26, 2.0, v23 op_sel_hi:[1,0,1] neg_lo:[0,0,1] neg_hi:[0,0,1]
	v_pk_fma_f16 v21, v21, 2.0, v28 op_sel_hi:[1,0,1] neg_lo:[0,0,1] neg_hi:[0,0,1]
	;; [unrolled: 1-line block ×3, first 2 shown]
	v_sub_f16_e32 v23, v72, v23
	v_fma_f16 v16, v16, 2.0, -v71
	v_sub_f16_e32 v67, v74, v67
	v_fma_f16 v28, v28, 2.0, -v73
	v_pk_add_f16 v29, v19, v29 neg_lo:[0,1] neg_hi:[0,1]
	v_pk_add_f16 v26, v18, v26 neg_lo:[0,1] neg_hi:[0,1]
	v_fma_f16 v72, v72, 2.0, -v23
	v_pk_add_f16 v30, v21, v30 neg_lo:[0,1] neg_hi:[0,1]
	v_fma_f16 v74, v74, 2.0, -v67
	v_fma_f16 v79, v28, s2, v16
	v_pk_add_f16 v68, v27, v68 neg_lo:[0,1] neg_hi:[0,1]
	v_lshrrev_b32_e32 v76, 16, v29
	v_lshrrev_b32_e32 v78, 16, v69
	v_fma_f16 v80, v74, s2, v72
	v_fma_f16 v74, v74, s3, v79
	v_add_f16_sdwa v79, v26, v30 dst_sel:DWORD dst_unused:UNUSED_PAD src0_sel:DWORD src1_sel:WORD_1
	v_pk_fma_f16 v27, v27, 2.0, v68 op_sel_hi:[1,0,1] neg_lo:[0,0,1] neg_hi:[0,0,1]
	v_pk_fma_f16 v31, v31, 2.0, v70 op_sel_hi:[1,0,1] neg_lo:[0,0,1] neg_hi:[0,0,1]
	;; [unrolled: 1-line block ×3, first 2 shown]
	v_add_f16_sdwa v75, v29, v68 dst_sel:DWORD dst_unused:UNUSED_PAD src0_sel:DWORD src1_sel:WORD_1
	v_sub_f16_e32 v68, v76, v68
	v_add_f16_sdwa v77, v69, v70 dst_sel:DWORD dst_unused:UNUSED_PAD src0_sel:DWORD src1_sel:WORD_1
	v_sub_f16_e32 v70, v78, v70
	v_fma_f16 v28, v28, s2, v80
	v_lshrrev_b32_e32 v80, 16, v26
	v_fma_f16 v81, v26, 2.0, -v79
	v_fma_f16 v26, v73, s3, v71
	v_pk_fma_f16 v19, v19, 2.0, v29 op_sel_hi:[1,0,1] neg_lo:[0,0,1] neg_hi:[0,0,1]
	v_pk_fma_f16 v22, v22, 2.0, v69 op_sel_hi:[1,0,1] neg_lo:[0,0,1] neg_hi:[0,0,1]
	v_fma_f16 v29, v29, 2.0, -v75
	v_fma_f16 v76, v76, 2.0, -v68
	;; [unrolled: 1-line block ×4, first 2 shown]
	v_fma_f16 v83, v67, s3, v26
	v_pk_add_f16 v27, v19, v27 neg_lo:[0,1] neg_hi:[0,1]
	v_pk_add_f16 v31, v22, v31 neg_lo:[0,1] neg_hi:[0,1]
	v_fma_f16 v82, v67, s3, v23
	v_fma_f16 v67, v71, 2.0, -v83
	v_fma_f16 v26, v69, s2, v29
	v_fma_f16 v71, v78, s2, v76
	v_pk_fma_f16 v21, v21, 2.0, v30 op_sel_hi:[1,0,1] neg_lo:[0,0,1] neg_hi:[0,0,1]
	v_pk_fma_f16 v19, v19, 2.0, v27 op_sel_hi:[1,0,1] neg_lo:[0,0,1] neg_hi:[0,0,1]
	;; [unrolled: 1-line block ×3, first 2 shown]
	v_fma_f16 v78, v78, s3, v26
	v_fma_f16 v69, v69, s2, v71
	v_lshrrev_b32_e32 v26, 16, v27
	v_pk_add_f16 v21, v18, v21 neg_lo:[0,1] neg_hi:[0,1]
	v_pk_add_f16 v22, v19, v22 neg_lo:[0,1] neg_hi:[0,1]
	v_fma_f16 v71, v76, 2.0, -v69
	v_add_f16_sdwa v76, v27, v31 dst_sel:DWORD dst_unused:UNUSED_PAD src0_sel:DWORD src1_sel:WORD_1
	v_sub_f16_e32 v31, v26, v31
	v_pk_fma_f16 v18, v18, 2.0, v21 op_sel_hi:[1,0,1] neg_lo:[0,0,1] neg_hi:[0,0,1]
	v_pk_fma_f16 v19, v19, 2.0, v22 op_sel_hi:[1,0,1] neg_lo:[0,0,1] neg_hi:[0,0,1]
	v_fma_f16 v84, v26, 2.0, -v31
	v_fma_f16 v26, v77, s3, v75
	v_fma_f16 v16, v16, 2.0, -v74
	v_fma_f16 v73, v73, s2, v82
	v_fma_f16 v29, v29, 2.0, -v78
	v_fma_f16 v82, v27, 2.0, -v76
	v_fma_f16 v27, v70, s3, v68
	v_fma_f16 v70, v70, s3, v26
	v_pk_add_f16 v26, v18, v19 neg_lo:[0,1] neg_hi:[0,1]
	v_fma_f16 v77, v77, s2, v27
	v_pk_fma_f16 v27, v18, 2.0, v26 op_sel_hi:[1,0,1] neg_lo:[0,0,1] neg_hi:[0,0,1]
	v_fma_f16 v18, v29, s12, v16
	v_fma_f16 v72, v72, 2.0, -v28
	v_sub_f16_e32 v30, v80, v30
	v_fma_f16 v18, v71, s9, v18
	v_fma_f16 v80, v80, 2.0, -v30
	v_fma_f16 v75, v75, 2.0, -v70
	v_fma_f16 v19, v71, s12, v72
	v_fma_f16 v71, v16, 2.0, -v18
	v_fma_f16 v16, v82, s2, v81
	v_fma_f16 v23, v23, 2.0, -v73
	v_fma_f16 v68, v68, 2.0, -v77
	v_fma_f16 v19, v29, s8, v19
	v_fma_f16 v29, v84, s2, v80
	;; [unrolled: 1-line block ×5, first 2 shown]
	v_fma_f16 v29, v81, 2.0, -v84
	v_fma_f16 v81, v68, s8, v23
	v_fma_f16 v68, v68, s13, v16
	v_lshrrev_b32_e32 v16, 16, v21
	v_fma_f16 v75, v75, s12, v81
	v_fma_f16 v81, v67, 2.0, -v68
	v_add_f16_sdwa v85, v21, v22 dst_sel:DWORD dst_unused:UNUSED_PAD src0_sel:DWORD src1_sel:WORD_1
	v_sub_f16_e32 v22, v16, v22
	v_fma_f16 v67, v69, s9, v28
	v_fma_f16 v86, v16, 2.0, -v22
	v_fma_f16 v16, v78, s9, v74
	v_fma_f16 v78, v78, s12, v67
	;; [unrolled: 1-line block ×3, first 2 shown]
	v_fma_f16 v87, v28, 2.0, -v78
	v_fma_f16 v16, v76, s3, v79
	v_fma_f16 v28, v31, s3, v30
	v_fma_f16 v31, v31, s3, v16
	v_fma_f16 v76, v76, s2, v28
	v_fma_f16 v16, v70, s13, v83
	v_fma_f16 v28, v77, s13, v73
	v_fma_f16 v72, v72, 2.0, -v19
	v_fma_f16 v80, v80, 2.0, -v82
	;; [unrolled: 1-line block ×3, first 2 shown]
	v_fma_f16 v16, v77, s9, v16
	v_fma_f16 v67, v70, s8, v28
	v_fma_f16 v21, v21, 2.0, -v85
	v_fma_f16 v74, v74, 2.0, -v69
	;; [unrolled: 1-line block ×6, first 2 shown]
	v_pack_b32_f16 v30, v81, v23
	v_pack_b32_f16 v29, v29, v80
	;; [unrolled: 1-line block ×3, first 2 shown]
	s_waitcnt lgkmcnt(0)
	; wave barrier
	ds_write_b128 v20, v[27:30]
	v_pack_b32_f16 v30, v70, v73
	v_pack_b32_f16 v29, v79, v88
	;; [unrolled: 1-line block ×4, first 2 shown]
	ds_write_b128 v20, v[27:30] offset:16
	v_pack_b32_f16 v29, v68, v75
	v_pack_b32_f16 v28, v84, v82
	;; [unrolled: 1-line block ×3, first 2 shown]
	ds_write_b128 v20, v[26:29] offset:32
	v_pack_b32_f16 v29, v16, v67
	v_pack_b32_f16 v28, v31, v76
	;; [unrolled: 1-line block ×4, first 2 shown]
	ds_write_b128 v20, v[26:29] offset:48
	s_waitcnt lgkmcnt(0)
	; wave barrier
	s_waitcnt lgkmcnt(0)
	ds_read2_b32 v[22:23], v46 offset1:48
	ds_read2_b32 v[30:31], v25 offset1:48
	ds_read2_b32 v[28:29], v24 offset0:48 offset1:96
	ds_read2_b32 v[20:21], v46 offset0:96 offset1:144
	;; [unrolled: 1-line block ×4, first 2 shown]
	ds_read2st64_b32 v[18:19], v46 offset0:3 offset1:4
	ds_read_b32 v68, v46 offset:2816
	s_and_saveexec_b64 s[0:1], vcc
	s_cbranch_execz .LBB0_7
; %bb.6:
	v_add_u32_e32 v16, 0xc0, v46
	ds_read2st64_b32 v[16:17], v16 offset0:3 offset1:7
	ds_read_b32 v59, v46 offset:3008
	s_waitcnt lgkmcnt(1)
	v_lshrrev_b32_e32 v67, 16, v16
	v_lshrrev_b32_e32 v60, 16, v17
	s_waitcnt lgkmcnt(0)
	v_lshrrev_b32_e32 v61, 16, v59
.LBB0_7:
	s_or_b64 exec, exec, s[0:1]
	s_waitcnt lgkmcnt(1)
	v_lshrrev_b32_e32 v70, 16, v19
	v_mul_f16_sdwa v84, v53, v70 dst_sel:DWORD dst_unused:UNUSED_PAD src0_sel:WORD_1 src1_sel:DWORD
	v_lshrrev_b32_e32 v71, 16, v30
	v_fma_f16 v84, v57, v19, v84
	v_mul_f16_sdwa v19, v53, v19 dst_sel:DWORD dst_unused:UNUSED_PAD src0_sel:WORD_1 src1_sel:DWORD
	v_fma_f16 v19, v57, v70, -v19
	v_mul_f16_sdwa v70, v54, v71 dst_sel:DWORD dst_unused:UNUSED_PAD src0_sel:WORD_1 src1_sel:DWORD
	v_lshrrev_b32_e32 v73, 16, v28
	v_fma_f16 v70, v58, v30, v70
	v_mul_f16_sdwa v30, v54, v30 dst_sel:DWORD dst_unused:UNUSED_PAD src0_sel:WORD_1 src1_sel:DWORD
	v_fma_f16 v30, v58, v71, -v30
	;; [unrolled: 5-line block ×8, first 2 shown]
	v_mul_f16_sdwa v80, v53, v82 dst_sel:DWORD dst_unused:UNUSED_PAD src0_sel:WORD_1 src1_sel:DWORD
	s_waitcnt lgkmcnt(0)
	v_lshrrev_b32_e32 v83, 16, v68
	v_fma_f16 v80, v57, v25, v80
	v_mul_f16_sdwa v25, v53, v25 dst_sel:DWORD dst_unused:UNUSED_PAD src0_sel:WORD_1 src1_sel:DWORD
	v_fma_f16 v25, v57, v82, -v25
	v_mul_f16_sdwa v57, v54, v83 dst_sel:DWORD dst_unused:UNUSED_PAD src0_sel:WORD_1 src1_sel:DWORD
	v_fma_f16 v57, v58, v68, v57
	v_mul_f16_sdwa v68, v54, v68 dst_sel:DWORD dst_unused:UNUSED_PAD src0_sel:WORD_1 src1_sel:DWORD
	v_add_f16_e32 v82, v84, v70
	v_lshrrev_b32_e32 v69, 16, v22
	v_fma_f16 v58, v58, v83, -v68
	v_add_f16_e32 v68, v22, v84
	v_fma_f16 v22, v82, -0.5, v22
	v_sub_f16_e32 v82, v19, v30
	s_mov_b32 s2, 0xbaee
	s_movk_i32 s3, 0x3aee
	v_fma_f16 v83, v82, s2, v22
	v_fma_f16 v22, v82, s3, v22
	v_add_f16_e32 v82, v69, v19
	v_add_f16_e32 v19, v19, v30
	;; [unrolled: 1-line block ×4, first 2 shown]
	v_fma_f16 v19, v19, -0.5, v69
	v_sub_f16_e32 v30, v84, v70
	v_add_f16_e32 v70, v71, v73
	v_lshrrev_b32_e32 v72, 16, v23
	v_fma_f16 v69, v30, s3, v19
	v_fma_f16 v19, v30, s2, v19
	v_add_f16_e32 v30, v23, v71
	v_fma_f16 v23, v70, -0.5, v23
	v_sub_f16_e32 v70, v28, v31
	v_fma_f16 v84, v70, s2, v23
	v_fma_f16 v23, v70, s3, v23
	v_add_f16_e32 v70, v72, v28
	v_add_f16_e32 v28, v28, v31
	v_add_f16_e32 v70, v70, v31
	v_fma_f16 v28, v28, -0.5, v72
	v_sub_f16_e32 v31, v71, v73
	v_add_f16_e32 v72, v74, v76
	v_lshrrev_b32_e32 v75, 16, v20
	v_fma_f16 v71, v31, s3, v28
	v_fma_f16 v28, v31, s2, v28
	v_add_f16_e32 v31, v20, v74
	v_fma_f16 v20, v72, -0.5, v20
	v_sub_f16_e32 v72, v29, v26
	v_add_f16_e32 v30, v30, v73
	v_fma_f16 v73, v72, s2, v20
	v_fma_f16 v20, v72, s3, v20
	v_add_f16_e32 v72, v75, v29
	v_add_f16_e32 v72, v72, v26
	v_add_f16_e32 v26, v29, v26
	v_fma_f16 v26, v26, -0.5, v75
	v_sub_f16_e32 v29, v74, v76
	v_add_f16_e32 v75, v77, v79
	v_lshrrev_b32_e32 v78, 16, v21
	v_fma_f16 v74, v29, s3, v26
	v_fma_f16 v26, v29, s2, v26
	v_add_f16_e32 v29, v21, v77
	v_fma_f16 v21, v75, -0.5, v21
	v_sub_f16_e32 v75, v24, v27
	v_add_f16_e32 v31, v31, v76
	v_fma_f16 v76, v75, s2, v21
	v_fma_f16 v21, v75, s3, v21
	v_add_f16_e32 v75, v78, v24
	v_add_f16_e32 v24, v24, v27
	v_add_f16_e32 v75, v75, v27
	v_fma_f16 v24, v24, -0.5, v78
	v_sub_f16_e32 v27, v77, v79
	v_add_f16_e32 v78, v80, v57
	v_lshrrev_b32_e32 v81, 16, v18
	v_fma_f16 v77, v27, s3, v24
	v_fma_f16 v24, v27, s2, v24
	v_add_f16_e32 v27, v18, v80
	v_fma_f16 v18, v78, -0.5, v18
	v_sub_f16_e32 v78, v25, v58
	v_add_f16_e32 v29, v29, v79
	v_fma_f16 v79, v78, s2, v18
	v_fma_f16 v18, v78, s3, v18
	v_add_f16_e32 v78, v81, v25
	v_add_f16_e32 v25, v25, v58
	;; [unrolled: 1-line block ×3, first 2 shown]
	v_fma_f16 v25, v25, -0.5, v81
	v_sub_f16_e32 v57, v80, v57
	v_pack_b32_f16 v19, v22, v19
	v_add_f16_e32 v78, v78, v58
	v_fma_f16 v58, v57, s3, v25
	v_fma_f16 v25, v57, s2, v25
	s_waitcnt lgkmcnt(0)
	; wave barrier
	v_pack_b32_f16 v57, v68, v82
	v_pack_b32_f16 v68, v83, v69
	ds_write_b32 v62, v19 offset:128
	v_pack_b32_f16 v19, v30, v70
	v_pack_b32_f16 v22, v84, v71
	ds_write2_b32 v62, v57, v68 offset1:16
	ds_write2_b32 v63, v19, v22 offset1:16
	v_pack_b32_f16 v19, v23, v28
	ds_write_b32 v63, v19 offset:128
	v_pack_b32_f16 v19, v31, v72
	v_pack_b32_f16 v22, v73, v74
	ds_write2_b32 v64, v19, v22 offset1:16
	v_pack_b32_f16 v19, v20, v26
	ds_write_b32 v64, v19 offset:128
	v_pack_b32_f16 v19, v29, v75
	v_pack_b32_f16 v20, v76, v77
	;; [unrolled: 5-line block ×3, first 2 shown]
	v_pack_b32_f16 v18, v18, v25
	ds_write2_b32 v66, v19, v20 offset1:16
	ds_write_b32 v66, v18 offset:128
	s_and_saveexec_b64 s[0:1], vcc
	s_cbranch_execz .LBB0_9
; %bb.8:
	v_mul_f16_e32 v18, v56, v59
	v_mul_f16_e32 v19, v55, v17
	;; [unrolled: 1-line block ×4, first 2 shown]
	v_fma_f16 v18, v54, v61, -v18
	v_fma_f16 v19, v53, v60, -v19
	v_fma_f16 v17, v53, v17, v21
	v_fma_f16 v22, v54, v59, v22
	v_add_f16_e32 v21, v17, v16
	v_add_f16_e32 v23, v19, v18
	v_sub_f16_e32 v24, v17, v22
	v_add_f16_e32 v17, v17, v22
	v_add_f16_e32 v20, v19, v67
	v_fma_f16 v23, v23, -0.5, v67
	v_fma_f16 v16, v17, -0.5, v16
	v_sub_f16_e32 v17, v19, v18
	v_add_f16_e32 v20, v18, v20
	v_add_f16_e32 v21, v21, v22
	v_fma_f16 v25, v24, s2, v23
	v_fma_f16 v23, v24, s3, v23
	;; [unrolled: 1-line block ×4, first 2 shown]
	v_pack_b32_f16 v17, v21, v20
	v_pack_b32_f16 v16, v16, v23
	v_add_u32_e32 v19, 0x800, v46
	ds_write2_b32 v19, v17, v16 offset0:208 offset1:224
	v_pack_b32_f16 v16, v18, v25
	ds_write_b32 v46, v16 offset:3008
.LBB0_9:
	s_or_b64 exec, exec, s[0:1]
	s_waitcnt lgkmcnt(0)
	; wave barrier
	s_waitcnt lgkmcnt(0)
	ds_read2_b32 v[19:20], v46 offset1:48
	ds_read2_b32 v[21:22], v46 offset0:96 offset1:144
	ds_read2_b32 v[23:24], v46 offset0:192 offset1:240
	v_add_u32_e32 v18, 0x400, v46
	ds_read2_b32 v[25:26], v18 offset0:32 offset1:80
	s_waitcnt lgkmcnt(3)
	v_lshrrev_b32_e32 v57, 16, v20
	v_mul_f16_sdwa v72, v0, v57 dst_sel:DWORD dst_unused:UNUSED_PAD src0_sel:WORD_1 src1_sel:DWORD
	s_waitcnt lgkmcnt(2)
	v_lshrrev_b32_e32 v58, 16, v21
	v_fma_f16 v72, v0, v20, v72
	v_mul_f16_sdwa v20, v0, v20 dst_sel:DWORD dst_unused:UNUSED_PAD src0_sel:WORD_1 src1_sel:DWORD
	v_fma_f16 v0, v0, v57, -v20
	v_mul_f16_sdwa v20, v1, v58 dst_sel:DWORD dst_unused:UNUSED_PAD src0_sel:WORD_1 src1_sel:DWORD
	v_lshrrev_b32_e32 v59, 16, v22
	v_fma_f16 v20, v1, v21, v20
	v_mul_f16_sdwa v21, v1, v21 dst_sel:DWORD dst_unused:UNUSED_PAD src0_sel:WORD_1 src1_sel:DWORD
	v_fma_f16 v1, v1, v58, -v21
	v_mul_f16_sdwa v21, v2, v59 dst_sel:DWORD dst_unused:UNUSED_PAD src0_sel:WORD_1 src1_sel:DWORD
	s_waitcnt lgkmcnt(1)
	v_lshrrev_b32_e32 v60, 16, v23
	v_fma_f16 v21, v2, v22, v21
	v_mul_f16_sdwa v22, v2, v22 dst_sel:DWORD dst_unused:UNUSED_PAD src0_sel:WORD_1 src1_sel:DWORD
	v_fma_f16 v2, v2, v59, -v22
	v_mul_f16_sdwa v22, v3, v60 dst_sel:DWORD dst_unused:UNUSED_PAD src0_sel:WORD_1 src1_sel:DWORD
	v_lshrrev_b32_e32 v61, 16, v24
	v_fma_f16 v22, v3, v23, v22
	v_mul_f16_sdwa v23, v3, v23 dst_sel:DWORD dst_unused:UNUSED_PAD src0_sel:WORD_1 src1_sel:DWORD
	ds_read2_b32 v[27:28], v18 offset0:128 offset1:176
	v_fma_f16 v3, v3, v60, -v23
	v_mul_f16_sdwa v23, v4, v61 dst_sel:DWORD dst_unused:UNUSED_PAD src0_sel:WORD_1 src1_sel:DWORD
	s_waitcnt lgkmcnt(1)
	v_lshrrev_b32_e32 v62, 16, v25
	v_fma_f16 v23, v4, v24, v23
	v_mul_f16_sdwa v24, v4, v24 dst_sel:DWORD dst_unused:UNUSED_PAD src0_sel:WORD_1 src1_sel:DWORD
	v_fma_f16 v4, v4, v61, -v24
	v_mul_f16_sdwa v24, v5, v62 dst_sel:DWORD dst_unused:UNUSED_PAD src0_sel:WORD_1 src1_sel:DWORD
	v_lshrrev_b32_e32 v63, 16, v26
	v_add_u32_e32 v17, 0x600, v46
	v_fma_f16 v24, v5, v25, v24
	v_mul_f16_sdwa v25, v5, v25 dst_sel:DWORD dst_unused:UNUSED_PAD src0_sel:WORD_1 src1_sel:DWORD
	ds_read2_b32 v[29:30], v17 offset0:96 offset1:144
	v_fma_f16 v5, v5, v62, -v25
	v_mul_f16_sdwa v25, v6, v63 dst_sel:DWORD dst_unused:UNUSED_PAD src0_sel:WORD_1 src1_sel:DWORD
	s_waitcnt lgkmcnt(1)
	v_lshrrev_b32_e32 v64, 16, v27
	v_fma_f16 v25, v6, v26, v25
	v_mul_f16_sdwa v26, v6, v26 dst_sel:DWORD dst_unused:UNUSED_PAD src0_sel:WORD_1 src1_sel:DWORD
	v_fma_f16 v6, v6, v63, -v26
	v_mul_f16_sdwa v26, v7, v64 dst_sel:DWORD dst_unused:UNUSED_PAD src0_sel:WORD_1 src1_sel:DWORD
	v_add_u32_e32 v16, 0x800, v46
	v_lshrrev_b32_e32 v65, 16, v28
	v_fma_f16 v26, v7, v27, v26
	v_mul_f16_sdwa v27, v7, v27 dst_sel:DWORD dst_unused:UNUSED_PAD src0_sel:WORD_1 src1_sel:DWORD
	ds_read2_b32 v[53:54], v16 offset0:64 offset1:112
	v_fma_f16 v7, v7, v64, -v27
	v_mul_f16_sdwa v27, v8, v65 dst_sel:DWORD dst_unused:UNUSED_PAD src0_sel:WORD_1 src1_sel:DWORD
	s_waitcnt lgkmcnt(1)
	v_lshrrev_b32_e32 v66, 16, v29
	v_fma_f16 v27, v8, v28, v27
	v_mul_f16_sdwa v28, v8, v28 dst_sel:DWORD dst_unused:UNUSED_PAD src0_sel:WORD_1 src1_sel:DWORD
	v_fma_f16 v8, v8, v65, -v28
	v_mul_f16_sdwa v28, v9, v66 dst_sel:DWORD dst_unused:UNUSED_PAD src0_sel:WORD_1 src1_sel:DWORD
	v_lshrrev_b32_e32 v67, 16, v30
	v_fma_f16 v28, v9, v29, v28
	v_mul_f16_sdwa v29, v9, v29 dst_sel:DWORD dst_unused:UNUSED_PAD src0_sel:WORD_1 src1_sel:DWORD
	ds_read2_b32 v[55:56], v16 offset0:160 offset1:208
	v_fma_f16 v9, v9, v66, -v29
	v_mul_f16_sdwa v29, v10, v67 dst_sel:DWORD dst_unused:UNUSED_PAD src0_sel:WORD_1 src1_sel:DWORD
	s_waitcnt lgkmcnt(1)
	v_lshrrev_b32_e32 v68, 16, v53
	v_fma_f16 v29, v10, v30, v29
	v_mul_f16_sdwa v30, v10, v30 dst_sel:DWORD dst_unused:UNUSED_PAD src0_sel:WORD_1 src1_sel:DWORD
	v_fma_f16 v10, v10, v67, -v30
	v_mul_f16_sdwa v30, v11, v68 dst_sel:DWORD dst_unused:UNUSED_PAD src0_sel:WORD_1 src1_sel:DWORD
	v_lshrrev_b32_e32 v69, 16, v54
	v_fma_f16 v30, v11, v53, v30
	v_mul_f16_sdwa v53, v11, v53 dst_sel:DWORD dst_unused:UNUSED_PAD src0_sel:WORD_1 src1_sel:DWORD
	v_fma_f16 v11, v11, v68, -v53
	v_mul_f16_sdwa v53, v12, v69 dst_sel:DWORD dst_unused:UNUSED_PAD src0_sel:WORD_1 src1_sel:DWORD
	s_waitcnt lgkmcnt(0)
	v_lshrrev_b32_e32 v70, 16, v55
	v_fma_f16 v53, v12, v54, v53
	v_mul_f16_sdwa v54, v12, v54 dst_sel:DWORD dst_unused:UNUSED_PAD src0_sel:WORD_1 src1_sel:DWORD
	v_fma_f16 v12, v12, v69, -v54
	v_mul_f16_sdwa v54, v13, v70 dst_sel:DWORD dst_unused:UNUSED_PAD src0_sel:WORD_1 src1_sel:DWORD
	v_lshrrev_b32_e32 v71, 16, v56
	v_fma_f16 v54, v13, v55, v54
	v_mul_f16_sdwa v55, v13, v55 dst_sel:DWORD dst_unused:UNUSED_PAD src0_sel:WORD_1 src1_sel:DWORD
	v_lshrrev_b32_e32 v31, 16, v19
	v_fma_f16 v13, v13, v70, -v55
	v_mul_f16_sdwa v55, v14, v71 dst_sel:DWORD dst_unused:UNUSED_PAD src0_sel:WORD_1 src1_sel:DWORD
	v_fma_f16 v55, v14, v56, v55
	v_mul_f16_sdwa v56, v14, v56 dst_sel:DWORD dst_unused:UNUSED_PAD src0_sel:WORD_1 src1_sel:DWORD
	v_sub_f16_e32 v26, v19, v26
	v_sub_f16_e32 v7, v31, v7
	;; [unrolled: 1-line block ×8, first 2 shown]
	v_fma_f16 v14, v14, v71, -v56
	v_fma_f16 v22, v22, 2.0, -v30
	v_fma_f16 v3, v3, 2.0, -v11
	;; [unrolled: 1-line block ×4, first 2 shown]
	v_add_f16_e32 v11, v26, v11
	v_sub_f16_e32 v30, v7, v30
	v_add_f16_e32 v13, v28, v13
	v_sub_f16_e32 v54, v9, v54
	v_fma_f16 v19, v19, 2.0, -v26
	v_fma_f16 v31, v31, 2.0, -v7
	;; [unrolled: 1-line block ×4, first 2 shown]
	v_sub_f16_e32 v27, v72, v27
	v_sub_f16_e32 v8, v0, v8
	;; [unrolled: 1-line block ×8, first 2 shown]
	v_fma_f16 v26, v26, 2.0, -v11
	v_fma_f16 v7, v7, 2.0, -v30
	;; [unrolled: 1-line block ×4, first 2 shown]
	s_mov_b32 s0, 0xb9a8
	v_fma_f16 v23, v23, 2.0, -v53
	v_fma_f16 v4, v4, 2.0, -v12
	;; [unrolled: 1-line block ×4, first 2 shown]
	v_add_f16_e32 v12, v27, v12
	v_sub_f16_e32 v53, v8, v53
	v_add_f16_e32 v14, v29, v14
	v_sub_f16_e32 v55, v10, v55
	v_fma_f16 v57, v28, s0, v26
	v_fma_f16 v58, v9, s0, v7
	s_movk_i32 s1, 0x39a8
	v_fma_f16 v56, v72, 2.0, -v27
	v_fma_f16 v0, v0, 2.0, -v8
	;; [unrolled: 1-line block ×8, first 2 shown]
	v_fma_f16 v9, v9, s1, v57
	v_fma_f16 v28, v28, s0, v58
	;; [unrolled: 1-line block ×8, first 2 shown]
	v_sub_f16_e32 v22, v19, v22
	v_sub_f16_e32 v3, v31, v3
	v_sub_f16_e32 v24, v20, v24
	v_sub_f16_e32 v5, v1, v5
	v_sub_f16_e32 v23, v56, v23
	v_sub_f16_e32 v4, v0, v4
	v_sub_f16_e32 v25, v21, v25
	v_sub_f16_e32 v6, v2, v6
	v_fma_f16 v10, v10, s1, v57
	v_fma_f16 v29, v29, s0, v58
	v_fma_f16 v20, v20, 2.0, -v24
	v_fma_f16 v1, v1, 2.0, -v5
	;; [unrolled: 1-line block ×6, first 2 shown]
	v_add_f16_e32 v5, v22, v5
	v_sub_f16_e32 v24, v3, v24
	v_fma_f16 v27, v27, 2.0, -v10
	v_fma_f16 v8, v8, 2.0, -v29
	v_add_f16_e32 v6, v23, v6
	v_sub_f16_e32 v25, v4, v25
	v_fma_f16 v57, v14, s1, v12
	v_fma_f16 v58, v55, s1, v53
	s_mov_b32 s2, 0xbb64
	v_fma_f16 v19, v19, 2.0, -v22
	v_fma_f16 v31, v31, 2.0, -v3
	;; [unrolled: 1-line block ×8, first 2 shown]
	v_fma_f16 v55, v55, s1, v57
	v_fma_f16 v14, v14, s0, v58
	;; [unrolled: 1-line block ×4, first 2 shown]
	s_movk_i32 s3, 0x361f
	v_sub_f16_e32 v20, v19, v20
	v_sub_f16_e32 v1, v31, v1
	v_fma_f16 v11, v11, 2.0, -v54
	v_fma_f16 v30, v30, 2.0, -v13
	v_sub_f16_e32 v21, v56, v21
	v_sub_f16_e32 v2, v0, v2
	v_fma_f16 v12, v12, 2.0, -v55
	v_fma_f16 v53, v53, 2.0, -v14
	v_fma_f16 v8, v8, s3, v57
	v_fma_f16 v27, v27, s8, v58
	;; [unrolled: 1-line block ×4, first 2 shown]
	v_fma_f16 v19, v19, 2.0, -v20
	v_fma_f16 v31, v31, 2.0, -v1
	;; [unrolled: 1-line block ×4, first 2 shown]
	v_fma_f16 v4, v4, s1, v57
	v_fma_f16 v23, v23, s0, v58
	;; [unrolled: 1-line block ×4, first 2 shown]
	s_movk_i32 s9, 0x3b64
	v_sub_f16_e32 v56, v19, v56
	v_sub_f16_e32 v0, v31, v0
	v_fma_f16 v53, v53, s9, v57
	v_fma_f16 v12, v12, s2, v58
	;; [unrolled: 1-line block ×4, first 2 shown]
	v_fma_f16 v19, v19, 2.0, -v56
	v_fma_f16 v31, v31, 2.0, -v0
	;; [unrolled: 1-line block ×4, first 2 shown]
	v_fma_f16 v29, v29, s9, v57
	v_fma_f16 v10, v10, s2, v58
	;; [unrolled: 1-line block ×4, first 2 shown]
	v_fma_f16 v22, v22, 2.0, -v4
	v_fma_f16 v3, v3, 2.0, -v23
	;; [unrolled: 1-line block ×4, first 2 shown]
	v_add_f16_e32 v2, v20, v2
	v_sub_f16_e32 v21, v1, v21
	v_fma_f16 v25, v25, s1, v57
	v_fma_f16 v6, v6, s0, v58
	;; [unrolled: 1-line block ×4, first 2 shown]
	v_pack_b32_f16 v19, v19, v31
	v_pack_b32_f16 v7, v26, v7
	v_fma_f16 v20, v20, 2.0, -v2
	v_fma_f16 v1, v1, 2.0, -v21
	;; [unrolled: 1-line block ×4, first 2 shown]
	v_fma_f16 v14, v14, s3, v57
	v_fma_f16 v55, v55, s8, v58
	ds_write2_b32 v46, v19, v7 offset1:48
	v_pack_b32_f16 v3, v22, v3
	v_pack_b32_f16 v7, v11, v30
	v_fma_f16 v5, v5, 2.0, -v25
	v_fma_f16 v24, v24, 2.0, -v6
	v_fma_f16 v54, v54, 2.0, -v14
	v_fma_f16 v13, v13, 2.0, -v55
	ds_write2_b32 v46, v3, v7 offset0:96 offset1:144
	v_pack_b32_f16 v1, v20, v1
	v_pack_b32_f16 v3, v9, v28
	ds_write2_b32 v46, v1, v3 offset0:192 offset1:240
	v_pack_b32_f16 v1, v5, v24
	v_pack_b32_f16 v3, v54, v13
	;; [unrolled: 3-line block ×6, first 2 shown]
	ds_write2_b32 v16, v0, v1 offset0:160 offset1:208
	s_waitcnt lgkmcnt(0)
	; wave barrier
	s_waitcnt lgkmcnt(0)
	ds_read2_b32 v[2:3], v46 offset1:48
	s_mov_b32 s2, 0x55555555
	s_mov_b32 s3, 0x3f555555
	v_mad_u64_u32 v[4:5], s[0:1], s6, v15, 0
	s_waitcnt lgkmcnt(0)
	v_lshrrev_b32_e32 v7, 16, v2
	v_mul_f16_sdwa v0, v52, v7 dst_sel:DWORD dst_unused:UNUSED_PAD src0_sel:WORD_1 src1_sel:DWORD
	v_fma_f16 v0, v52, v2, v0
	v_cvt_f32_f16_e32 v0, v0
	s_movk_i32 s6, 0x1ff
	v_mad_u64_u32 v[5:6], s[0:1], s7, v15, v[5:6]
	v_cvt_f64_f32_e32 v[0:1], v0
	s_movk_i32 s7, 0xffe
	v_mul_f16_sdwa v2, v52, v2 dst_sel:DWORD dst_unused:UNUSED_PAD src0_sel:WORD_1 src1_sel:DWORD
	v_fma_f16 v2, v52, v7, -v2
	v_mul_f64 v[0:1], v[0:1], s[2:3]
	v_cvt_f32_f16_e32 v2, v2
	s_movk_i32 s8, 0x40f
	s_mov_b32 s9, 0x8000
	v_lshrrev_b32_e32 v11, 16, v3
	v_lshlrev_b64 v[4:5], 2, v[4:5]
	v_mov_b32_e32 v12, s11
	s_mul_i32 s11, s4, 0xc0
	v_and_or_b32 v0, v1, s6, v0
	v_cmp_ne_u32_e32 vcc, 0, v0
	v_cndmask_b32_e64 v0, 0, 1, vcc
	v_lshrrev_b32_e32 v6, 8, v1
	v_and_or_b32 v8, v6, s7, v0
	v_bfe_u32 v6, v1, 20, 11
	v_sub_u32_e32 v9, 0x3f1, v6
	v_or_b32_e32 v0, 0x1000, v8
	v_med3_i32 v9, v9, 0, 13
	v_lshrrev_b32_e32 v10, v9, v0
	v_lshlrev_b32_e32 v9, v9, v10
	v_cmp_ne_u32_e32 vcc, v9, v0
	v_cndmask_b32_e64 v0, 0, 1, vcc
	v_add_u32_e32 v9, 0xfffffc10, v6
	v_or_b32_e32 v0, v10, v0
	v_lshl_or_b32 v6, v9, 12, v8
	v_cmp_gt_i32_e32 vcc, 1, v9
	v_cndmask_b32_e32 v0, v6, v0, vcc
	v_and_b32_e32 v6, 7, v0
	v_cmp_lt_i32_e32 vcc, 5, v6
	v_cmp_eq_u32_e64 s[0:1], 3, v6
	v_cvt_f64_f32_e32 v[6:7], v2
	v_lshrrev_b32_e32 v0, 2, v0
	s_or_b64 vcc, s[0:1], vcc
	v_addc_co_u32_e32 v10, vcc, 0, v0, vcc
	v_mul_f64 v[6:7], v[6:7], s[2:3]
	v_mov_b32_e32 v0, 0x7c00
	v_cmp_gt_i32_e32 vcc, 31, v9
	v_cndmask_b32_e32 v2, v0, v10, vcc
	v_cmp_ne_u32_e32 vcc, 0, v8
	v_cndmask_b32_e64 v8, 0, 1, vcc
	v_lshl_or_b32 v8, v8, 9, v0
	v_cmp_eq_u32_e32 vcc, s8, v9
	v_cndmask_b32_e32 v2, v2, v8, vcc
	v_lshrrev_b32_e32 v1, 16, v1
	v_and_or_b32 v10, v1, s9, v2
	v_and_or_b32 v1, v7, s6, v6
	v_cmp_ne_u32_e32 vcc, 0, v1
	v_cndmask_b32_e64 v1, 0, 1, vcc
	v_lshrrev_b32_e32 v2, 8, v7
	v_bfe_u32 v6, v7, 20, 11
	v_and_or_b32 v1, v2, s7, v1
	v_sub_u32_e32 v8, 0x3f1, v6
	v_or_b32_e32 v2, 0x1000, v1
	v_med3_i32 v8, v8, 0, 13
	v_lshrrev_b32_e32 v9, v8, v2
	v_lshlrev_b32_e32 v8, v8, v9
	v_cmp_ne_u32_e32 vcc, v8, v2
	v_cndmask_b32_e64 v2, 0, 1, vcc
	v_add_u32_e32 v6, 0xfffffc10, v6
	v_or_b32_e32 v2, v9, v2
	v_lshl_or_b32 v8, v6, 12, v1
	v_cmp_gt_i32_e32 vcc, 1, v6
	v_cndmask_b32_e32 v2, v8, v2, vcc
	v_and_b32_e32 v8, 7, v2
	v_cmp_lt_i32_e32 vcc, 5, v8
	v_cmp_eq_u32_e64 s[0:1], 3, v8
	v_lshrrev_b32_e32 v2, 2, v2
	s_or_b64 vcc, s[0:1], vcc
	v_addc_co_u32_e32 v2, vcc, 0, v2, vcc
	v_cmp_gt_i32_e32 vcc, 31, v6
	v_mad_u64_u32 v[8:9], s[0:1], s4, v50, 0
	v_cndmask_b32_e32 v2, v0, v2, vcc
	v_cmp_ne_u32_e32 vcc, 0, v1
	v_cndmask_b32_e64 v1, 0, 1, vcc
	v_lshl_or_b32 v1, v1, 9, v0
	v_cmp_eq_u32_e32 vcc, s8, v6
	v_cndmask_b32_e32 v6, v2, v1, vcc
	v_mov_b32_e32 v1, v9
	v_mad_u64_u32 v[1:2], s[0:1], s5, v50, v[1:2]
	v_mul_f16_sdwa v2, v51, v11 dst_sel:DWORD dst_unused:UNUSED_PAD src0_sel:WORD_1 src1_sel:DWORD
	v_fma_f16 v2, v51, v3, v2
	v_cvt_f32_f16_e32 v2, v2
	v_mov_b32_e32 v9, v1
	v_lshrrev_b32_e32 v7, 16, v7
	v_and_or_b32 v6, v7, s9, v6
	v_cvt_f64_f32_e32 v[1:2], v2
	v_and_b32_e32 v7, 0xffff, v10
	v_lshl_or_b32 v10, v6, 16, v7
	v_mul_f16_sdwa v3, v51, v3 dst_sel:DWORD dst_unused:UNUSED_PAD src0_sel:WORD_1 src1_sel:DWORD
	v_mul_f64 v[6:7], v[1:2], s[2:3]
	v_add_co_u32_e32 v1, vcc, s10, v4
	v_addc_co_u32_e32 v2, vcc, v12, v5, vcc
	v_lshlrev_b64 v[4:5], 2, v[8:9]
	v_fma_f16 v3, v51, v11, -v3
	v_add_co_u32_e32 v4, vcc, v1, v4
	v_addc_co_u32_e32 v5, vcc, v2, v5, vcc
	v_and_or_b32 v6, v7, s6, v6
	v_cmp_ne_u32_e32 vcc, 0, v6
	v_cndmask_b32_e64 v6, 0, 1, vcc
	v_lshrrev_b32_e32 v8, 8, v7
	v_bfe_u32 v9, v7, 20, 11
	global_store_dword v[4:5], v10, off
	v_and_or_b32 v6, v8, s7, v6
	v_sub_u32_e32 v10, 0x3f1, v9
	v_or_b32_e32 v8, 0x1000, v6
	v_med3_i32 v10, v10, 0, 13
	v_lshrrev_b32_e32 v12, v10, v8
	v_lshlrev_b32_e32 v10, v10, v12
	v_cmp_ne_u32_e32 vcc, v10, v8
	v_cndmask_b32_e64 v8, 0, 1, vcc
	v_add_u32_e32 v10, 0xfffffc10, v9
	v_cvt_f32_f16_e32 v3, v3
	v_or_b32_e32 v8, v12, v8
	v_lshl_or_b32 v9, v10, 12, v6
	v_cmp_gt_i32_e32 vcc, 1, v10
	v_cndmask_b32_e32 v8, v9, v8, vcc
	v_and_b32_e32 v9, 7, v8
	v_cmp_lt_i32_e32 vcc, 5, v9
	v_cmp_eq_u32_e64 s[0:1], 3, v9
	v_lshrrev_b32_e32 v11, 2, v8
	v_cvt_f64_f32_e32 v[8:9], v3
	s_or_b64 vcc, s[0:1], vcc
	v_addc_co_u32_e32 v3, vcc, 0, v11, vcc
	v_mul_f64 v[8:9], v[8:9], s[2:3]
	v_cmp_gt_i32_e32 vcc, 31, v10
	v_cndmask_b32_e32 v3, v0, v3, vcc
	v_cmp_ne_u32_e32 vcc, 0, v6
	v_cndmask_b32_e64 v6, 0, 1, vcc
	v_lshl_or_b32 v6, v6, 9, v0
	v_cmp_eq_u32_e32 vcc, s8, v10
	v_cndmask_b32_e32 v3, v3, v6, vcc
	v_lshrrev_b32_e32 v6, 16, v7
	v_and_or_b32 v3, v6, s9, v3
	v_and_or_b32 v6, v9, s6, v8
	v_cmp_ne_u32_e32 vcc, 0, v6
	v_cndmask_b32_e64 v6, 0, 1, vcc
	v_lshrrev_b32_e32 v7, 8, v9
	v_bfe_u32 v8, v9, 20, 11
	v_and_or_b32 v6, v7, s7, v6
	v_sub_u32_e32 v10, 0x3f1, v8
	v_or_b32_e32 v7, 0x1000, v6
	v_med3_i32 v10, v10, 0, 13
	v_lshrrev_b32_e32 v11, v10, v7
	v_lshlrev_b32_e32 v10, v10, v11
	v_cmp_ne_u32_e32 vcc, v10, v7
	v_cndmask_b32_e64 v7, 0, 1, vcc
	v_add_u32_e32 v8, 0xfffffc10, v8
	v_or_b32_e32 v7, v11, v7
	v_lshl_or_b32 v10, v8, 12, v6
	v_cmp_gt_i32_e32 vcc, 1, v8
	v_cndmask_b32_e32 v7, v10, v7, vcc
	v_and_b32_e32 v10, 7, v7
	v_cmp_lt_i32_e32 vcc, 5, v10
	v_cmp_eq_u32_e64 s[0:1], 3, v10
	v_lshrrev_b32_e32 v7, 2, v7
	s_or_b64 vcc, s[0:1], vcc
	v_addc_co_u32_e32 v7, vcc, 0, v7, vcc
	v_cmp_gt_i32_e32 vcc, 31, v8
	v_cndmask_b32_e32 v10, v0, v7, vcc
	v_cmp_ne_u32_e32 vcc, 0, v6
	ds_read2_b32 v[6:7], v46 offset0:96 offset1:144
	v_cndmask_b32_e64 v11, 0, 1, vcc
	v_lshl_or_b32 v11, v11, 9, v0
	v_cmp_eq_u32_e32 vcc, s8, v8
	v_cndmask_b32_e32 v8, v10, v11, vcc
	s_waitcnt lgkmcnt(0)
	v_lshrrev_b32_e32 v10, 16, v6
	v_mul_f16_sdwa v11, v49, v10 dst_sel:DWORD dst_unused:UNUSED_PAD src0_sel:WORD_1 src1_sel:DWORD
	v_fma_f16 v11, v49, v6, v11
	v_cvt_f32_f16_e32 v11, v11
	v_lshrrev_b32_e32 v9, 16, v9
	v_and_or_b32 v8, v9, s9, v8
	v_and_b32_e32 v3, 0xffff, v3
	v_lshl_or_b32 v12, v8, 16, v3
	v_cvt_f64_f32_e32 v[8:9], v11
	s_mul_i32 s0, s5, 0xc0
	s_mul_hi_u32 s10, s4, 0xc0
	s_add_i32 s10, s10, s0
	v_mul_f64 v[8:9], v[8:9], s[2:3]
	v_mov_b32_e32 v11, s10
	v_add_co_u32_e32 v3, vcc, s11, v4
	v_addc_co_u32_e32 v4, vcc, v5, v11, vcc
	global_store_dword v[3:4], v12, off
	v_mul_f16_sdwa v6, v49, v6 dst_sel:DWORD dst_unused:UNUSED_PAD src0_sel:WORD_1 src1_sel:DWORD
	v_and_or_b32 v5, v9, s6, v8
	v_cmp_ne_u32_e32 vcc, 0, v5
	v_cndmask_b32_e64 v5, 0, 1, vcc
	v_lshrrev_b32_e32 v8, 8, v9
	v_bfe_u32 v11, v9, 20, 11
	v_and_or_b32 v8, v8, s7, v5
	v_sub_u32_e32 v12, 0x3f1, v11
	v_or_b32_e32 v5, 0x1000, v8
	v_med3_i32 v12, v12, 0, 13
	v_lshrrev_b32_e32 v13, v12, v5
	v_lshlrev_b32_e32 v12, v12, v13
	v_fma_f16 v6, v49, v10, -v6
	v_cmp_ne_u32_e32 vcc, v12, v5
	v_cvt_f32_f16_e32 v6, v6
	v_cndmask_b32_e64 v5, 0, 1, vcc
	v_add_u32_e32 v11, 0xfffffc10, v11
	v_or_b32_e32 v5, v13, v5
	v_lshl_or_b32 v12, v11, 12, v8
	v_cmp_gt_i32_e32 vcc, 1, v11
	v_cndmask_b32_e32 v5, v12, v5, vcc
	v_and_b32_e32 v12, 7, v5
	v_lshrrev_b32_e32 v10, 2, v5
	v_cvt_f64_f32_e32 v[5:6], v6
	v_cmp_lt_i32_e32 vcc, 5, v12
	v_cmp_eq_u32_e64 s[0:1], 3, v12
	s_or_b64 vcc, s[0:1], vcc
	v_mul_f64 v[5:6], v[5:6], s[2:3]
	v_addc_co_u32_e32 v10, vcc, 0, v10, vcc
	v_cmp_gt_i32_e32 vcc, 31, v11
	v_cndmask_b32_e32 v10, v0, v10, vcc
	v_cmp_ne_u32_e32 vcc, 0, v8
	v_cndmask_b32_e64 v8, 0, 1, vcc
	v_lshl_or_b32 v8, v8, 9, v0
	v_cmp_eq_u32_e32 vcc, s8, v11
	v_and_or_b32 v5, v6, s6, v5
	v_cndmask_b32_e32 v8, v10, v8, vcc
	v_lshrrev_b32_e32 v9, 16, v9
	v_cmp_ne_u32_e32 vcc, 0, v5
	v_and_or_b32 v10, v9, s9, v8
	v_cndmask_b32_e64 v5, 0, 1, vcc
	v_lshrrev_b32_e32 v8, 8, v6
	v_bfe_u32 v9, v6, 20, 11
	v_and_or_b32 v5, v8, s7, v5
	v_sub_u32_e32 v11, 0x3f1, v9
	v_or_b32_e32 v8, 0x1000, v5
	v_med3_i32 v11, v11, 0, 13
	v_lshrrev_b32_e32 v12, v11, v8
	v_lshlrev_b32_e32 v11, v11, v12
	v_cmp_ne_u32_e32 vcc, v11, v8
	v_cndmask_b32_e64 v8, 0, 1, vcc
	v_add_u32_e32 v9, 0xfffffc10, v9
	v_or_b32_e32 v8, v12, v8
	v_lshl_or_b32 v11, v9, 12, v5
	v_cmp_gt_i32_e32 vcc, 1, v9
	v_cndmask_b32_e32 v8, v11, v8, vcc
	v_and_b32_e32 v11, 7, v8
	v_cmp_lt_i32_e32 vcc, 5, v11
	v_cmp_eq_u32_e64 s[0:1], 3, v11
	v_lshrrev_b32_e32 v11, 16, v7
	v_lshrrev_b32_e32 v8, 2, v8
	s_or_b64 vcc, s[0:1], vcc
	v_mul_f16_sdwa v12, v48, v11 dst_sel:DWORD dst_unused:UNUSED_PAD src0_sel:WORD_1 src1_sel:DWORD
	v_addc_co_u32_e32 v8, vcc, 0, v8, vcc
	v_fma_f16 v12, v48, v7, v12
	v_cmp_gt_i32_e32 vcc, 31, v9
	v_cvt_f32_f16_e32 v12, v12
	v_cndmask_b32_e32 v8, v0, v8, vcc
	v_cmp_ne_u32_e32 vcc, 0, v5
	v_cndmask_b32_e64 v5, 0, 1, vcc
	v_lshl_or_b32 v5, v5, 9, v0
	v_cmp_eq_u32_e32 vcc, s8, v9
	v_cndmask_b32_e32 v5, v8, v5, vcc
	v_cvt_f64_f32_e32 v[8:9], v12
	v_lshrrev_b32_e32 v6, 16, v6
	v_and_or_b32 v12, v6, s9, v5
	v_add_co_u32_e32 v3, vcc, s11, v3
	v_mul_f64 v[5:6], v[8:9], s[2:3]
	v_mov_b32_e32 v9, s10
	v_and_b32_e32 v10, 0xffff, v10
	v_addc_co_u32_e32 v4, vcc, v4, v9, vcc
	v_lshl_or_b32 v8, v12, 16, v10
	global_store_dword v[3:4], v8, off
	v_mul_f16_sdwa v7, v48, v7 dst_sel:DWORD dst_unused:UNUSED_PAD src0_sel:WORD_1 src1_sel:DWORD
	v_and_or_b32 v5, v6, s6, v5
	v_cmp_ne_u32_e32 vcc, 0, v5
	v_cndmask_b32_e64 v5, 0, 1, vcc
	v_lshrrev_b32_e32 v8, 8, v6
	v_bfe_u32 v9, v6, 20, 11
	v_and_or_b32 v5, v8, s7, v5
	v_sub_u32_e32 v10, 0x3f1, v9
	v_or_b32_e32 v8, 0x1000, v5
	v_med3_i32 v10, v10, 0, 13
	v_lshrrev_b32_e32 v12, v10, v8
	v_lshlrev_b32_e32 v10, v10, v12
	v_cmp_ne_u32_e32 vcc, v10, v8
	v_fma_f16 v7, v48, v11, -v7
	v_cndmask_b32_e64 v8, 0, 1, vcc
	v_add_u32_e32 v9, 0xfffffc10, v9
	v_cvt_f32_f16_e32 v7, v7
	v_or_b32_e32 v8, v12, v8
	v_lshl_or_b32 v10, v9, 12, v5
	v_cmp_gt_i32_e32 vcc, 1, v9
	v_cndmask_b32_e32 v8, v10, v8, vcc
	v_and_b32_e32 v10, 7, v8
	v_cmp_lt_i32_e32 vcc, 5, v10
	v_cmp_eq_u32_e64 s[0:1], 3, v10
	v_lshrrev_b32_e32 v10, 2, v8
	v_cvt_f64_f32_e32 v[7:8], v7
	s_or_b64 vcc, s[0:1], vcc
	v_addc_co_u32_e32 v10, vcc, 0, v10, vcc
	v_mul_f64 v[7:8], v[7:8], s[2:3]
	v_cmp_gt_i32_e32 vcc, 31, v9
	v_cndmask_b32_e32 v10, v0, v10, vcc
	v_cmp_ne_u32_e32 vcc, 0, v5
	v_cndmask_b32_e64 v5, 0, 1, vcc
	v_lshl_or_b32 v5, v5, 9, v0
	v_cmp_eq_u32_e32 vcc, s8, v9
	v_cndmask_b32_e32 v5, v10, v5, vcc
	v_lshrrev_b32_e32 v6, 16, v6
	v_and_or_b32 v11, v6, s9, v5
	v_and_or_b32 v5, v8, s6, v7
	v_cmp_ne_u32_e32 vcc, 0, v5
	v_cndmask_b32_e64 v5, 0, 1, vcc
	v_lshrrev_b32_e32 v6, 8, v8
	v_and_or_b32 v7, v6, s7, v5
	v_bfe_u32 v6, v8, 20, 11
	v_sub_u32_e32 v9, 0x3f1, v6
	v_or_b32_e32 v5, 0x1000, v7
	v_med3_i32 v9, v9, 0, 13
	v_lshrrev_b32_e32 v10, v9, v5
	v_lshlrev_b32_e32 v9, v9, v10
	v_cmp_ne_u32_e32 vcc, v9, v5
	v_cndmask_b32_e64 v5, 0, 1, vcc
	v_add_u32_e32 v9, 0xfffffc10, v6
	v_or_b32_e32 v5, v10, v5
	v_lshl_or_b32 v6, v9, 12, v7
	v_cmp_gt_i32_e32 vcc, 1, v9
	v_cndmask_b32_e32 v5, v6, v5, vcc
	v_and_b32_e32 v6, 7, v5
	v_cmp_lt_i32_e32 vcc, 5, v6
	v_cmp_eq_u32_e64 s[0:1], 3, v6
	v_lshrrev_b32_e32 v5, 2, v5
	s_or_b64 vcc, s[0:1], vcc
	v_addc_co_u32_e32 v10, vcc, 0, v5, vcc
	ds_read2_b32 v[5:6], v46 offset0:192 offset1:240
	v_cmp_gt_i32_e32 vcc, 31, v9
	v_cndmask_b32_e32 v10, v0, v10, vcc
	v_cmp_ne_u32_e32 vcc, 0, v7
	v_cndmask_b32_e64 v7, 0, 1, vcc
	s_waitcnt lgkmcnt(0)
	v_lshrrev_b32_e32 v12, 16, v5
	v_mul_f16_sdwa v13, v47, v12 dst_sel:DWORD dst_unused:UNUSED_PAD src0_sel:WORD_1 src1_sel:DWORD
	v_fma_f16 v13, v47, v5, v13
	v_cvt_f32_f16_e32 v13, v13
	v_lshl_or_b32 v7, v7, 9, v0
	v_cmp_eq_u32_e32 vcc, s8, v9
	v_cndmask_b32_e32 v7, v10, v7, vcc
	v_cvt_f64_f32_e32 v[9:10], v13
	v_lshrrev_b32_e32 v8, 16, v8
	v_and_or_b32 v13, v8, s9, v7
	v_add_co_u32_e32 v3, vcc, s11, v3
	v_mul_f64 v[7:8], v[9:10], s[2:3]
	v_mov_b32_e32 v10, s10
	v_and_b32_e32 v11, 0xffff, v11
	v_addc_co_u32_e32 v4, vcc, v4, v10, vcc
	v_lshl_or_b32 v9, v13, 16, v11
	global_store_dword v[3:4], v9, off
	v_mul_f16_sdwa v5, v47, v5 dst_sel:DWORD dst_unused:UNUSED_PAD src0_sel:WORD_1 src1_sel:DWORD
	v_and_or_b32 v7, v8, s6, v7
	v_cmp_ne_u32_e32 vcc, 0, v7
	v_cndmask_b32_e64 v7, 0, 1, vcc
	v_lshrrev_b32_e32 v9, 8, v8
	v_bfe_u32 v10, v8, 20, 11
	v_and_or_b32 v7, v9, s7, v7
	v_sub_u32_e32 v11, 0x3f1, v10
	v_or_b32_e32 v9, 0x1000, v7
	v_med3_i32 v11, v11, 0, 13
	v_lshrrev_b32_e32 v13, v11, v9
	v_lshlrev_b32_e32 v11, v11, v13
	v_cmp_ne_u32_e32 vcc, v11, v9
	v_fma_f16 v5, v47, v12, -v5
	v_cndmask_b32_e64 v9, 0, 1, vcc
	v_add_u32_e32 v11, 0xfffffc10, v10
	v_cvt_f32_f16_e32 v5, v5
	v_or_b32_e32 v9, v13, v9
	v_lshl_or_b32 v10, v11, 12, v7
	v_cmp_gt_i32_e32 vcc, 1, v11
	v_cndmask_b32_e32 v9, v10, v9, vcc
	v_and_b32_e32 v10, 7, v9
	v_cmp_lt_i32_e32 vcc, 5, v10
	v_cmp_eq_u32_e64 s[0:1], 3, v10
	v_lshrrev_b32_e32 v12, 2, v9
	v_cvt_f64_f32_e32 v[9:10], v5
	s_or_b64 vcc, s[0:1], vcc
	v_addc_co_u32_e32 v5, vcc, 0, v12, vcc
	v_mul_f64 v[9:10], v[9:10], s[2:3]
	v_cmp_gt_i32_e32 vcc, 31, v11
	v_cndmask_b32_e32 v5, v0, v5, vcc
	v_cmp_ne_u32_e32 vcc, 0, v7
	v_cndmask_b32_e64 v7, 0, 1, vcc
	v_lshl_or_b32 v7, v7, 9, v0
	v_cmp_eq_u32_e32 vcc, s8, v11
	v_cndmask_b32_e32 v5, v5, v7, vcc
	v_lshrrev_b32_e32 v7, 16, v8
	v_and_or_b32 v11, v7, s9, v5
	v_and_or_b32 v5, v10, s6, v9
	v_cmp_ne_u32_e32 vcc, 0, v5
	v_cndmask_b32_e64 v5, 0, 1, vcc
	v_lshrrev_b32_e32 v7, 8, v10
	v_bfe_u32 v8, v10, 20, 11
	v_and_or_b32 v5, v7, s7, v5
	v_sub_u32_e32 v9, 0x3f1, v8
	v_or_b32_e32 v7, 0x1000, v5
	v_med3_i32 v9, v9, 0, 13
	v_lshrrev_b32_e32 v12, v9, v7
	v_lshlrev_b32_e32 v9, v9, v12
	v_cmp_ne_u32_e32 vcc, v9, v7
	v_cndmask_b32_e64 v7, 0, 1, vcc
	v_add_u32_e32 v9, 0xfffffc10, v8
	v_or_b32_e32 v7, v12, v7
	v_lshl_or_b32 v8, v9, 12, v5
	v_cmp_gt_i32_e32 vcc, 1, v9
	v_cndmask_b32_e32 v7, v8, v7, vcc
	v_and_b32_e32 v8, 7, v7
	v_cmp_lt_i32_e32 vcc, 5, v8
	v_cmp_eq_u32_e64 s[0:1], 3, v8
	v_lshrrev_b32_e32 v7, 2, v7
	s_or_b64 vcc, s[0:1], vcc
	v_addc_co_u32_e32 v7, vcc, 0, v7, vcc
	v_cmp_gt_i32_e32 vcc, 31, v9
	v_cndmask_b32_e32 v12, v0, v7, vcc
	v_mad_u64_u32 v[7:8], s[0:1], s4, v44, 0
	v_cmp_ne_u32_e32 vcc, 0, v5
	v_cndmask_b32_e64 v5, 0, 1, vcc
	v_lshl_or_b32 v5, v5, 9, v0
	v_cmp_eq_u32_e32 vcc, s8, v9
	v_lshrrev_b32_e32 v13, 16, v6
	v_cndmask_b32_e32 v12, v12, v5, vcc
	v_mov_b32_e32 v5, v8
	v_mul_f16_sdwa v8, v45, v13 dst_sel:DWORD dst_unused:UNUSED_PAD src0_sel:WORD_1 src1_sel:DWORD
	v_fma_f16 v8, v45, v6, v8
	v_cvt_f32_f16_e32 v14, v8
	v_mad_u64_u32 v[8:9], s[0:1], s5, v44, v[5:6]
	v_lshrrev_b32_e32 v5, 16, v10
	v_cvt_f64_f32_e32 v[9:10], v14
	v_lshlrev_b64 v[7:8], 2, v[7:8]
	v_and_or_b32 v5, v5, s9, v12
	v_and_b32_e32 v11, 0xffff, v11
	v_mul_f64 v[9:10], v[9:10], s[2:3]
	v_add_co_u32_e32 v7, vcc, v1, v7
	v_lshl_or_b32 v5, v5, 16, v11
	v_addc_co_u32_e32 v8, vcc, v2, v8, vcc
	global_store_dword v[7:8], v5, off
	v_mul_f16_sdwa v6, v45, v6 dst_sel:DWORD dst_unused:UNUSED_PAD src0_sel:WORD_1 src1_sel:DWORD
	v_and_or_b32 v5, v10, s6, v9
	v_cmp_ne_u32_e32 vcc, 0, v5
	v_cndmask_b32_e64 v5, 0, 1, vcc
	v_lshrrev_b32_e32 v7, 8, v10
	v_bfe_u32 v8, v10, 20, 11
	v_and_or_b32 v7, v7, s7, v5
	v_sub_u32_e32 v9, 0x3f1, v8
	v_or_b32_e32 v5, 0x1000, v7
	v_med3_i32 v9, v9, 0, 13
	v_lshrrev_b32_e32 v11, v9, v5
	v_lshlrev_b32_e32 v9, v9, v11
	v_cmp_ne_u32_e32 vcc, v9, v5
	v_fma_f16 v6, v45, v13, -v6
	v_cndmask_b32_e64 v5, 0, 1, vcc
	v_add_u32_e32 v8, 0xfffffc10, v8
	v_cvt_f32_f16_e32 v6, v6
	v_or_b32_e32 v5, v11, v5
	v_lshl_or_b32 v9, v8, 12, v7
	v_cmp_gt_i32_e32 vcc, 1, v8
	v_cndmask_b32_e32 v5, v9, v5, vcc
	v_and_b32_e32 v9, 7, v5
	v_cmp_lt_i32_e32 vcc, 5, v9
	v_cmp_eq_u32_e64 s[0:1], 3, v9
	v_lshrrev_b32_e32 v9, 2, v5
	v_cvt_f64_f32_e32 v[5:6], v6
	s_or_b64 vcc, s[0:1], vcc
	v_addc_co_u32_e32 v9, vcc, 0, v9, vcc
	v_mul_f64 v[5:6], v[5:6], s[2:3]
	v_cmp_gt_i32_e32 vcc, 31, v8
	v_cndmask_b32_e32 v9, v0, v9, vcc
	v_cmp_ne_u32_e32 vcc, 0, v7
	v_cndmask_b32_e64 v7, 0, 1, vcc
	v_lshl_or_b32 v7, v7, 9, v0
	v_cmp_eq_u32_e32 vcc, s8, v8
	v_cndmask_b32_e32 v7, v9, v7, vcc
	v_and_or_b32 v5, v6, s6, v5
	v_lshrrev_b32_e32 v8, 16, v10
	v_cmp_ne_u32_e32 vcc, 0, v5
	v_and_or_b32 v9, v8, s9, v7
	v_cndmask_b32_e64 v5, 0, 1, vcc
	v_lshrrev_b32_e32 v7, 8, v6
	v_bfe_u32 v8, v6, 20, 11
	v_and_or_b32 v5, v7, s7, v5
	v_sub_u32_e32 v10, 0x3f1, v8
	v_or_b32_e32 v7, 0x1000, v5
	v_med3_i32 v10, v10, 0, 13
	v_lshrrev_b32_e32 v11, v10, v7
	v_lshlrev_b32_e32 v10, v10, v11
	v_cmp_ne_u32_e32 vcc, v10, v7
	v_cndmask_b32_e64 v7, 0, 1, vcc
	v_add_u32_e32 v10, 0xfffffc10, v8
	v_or_b32_e32 v7, v11, v7
	v_lshl_or_b32 v8, v10, 12, v5
	v_cmp_gt_i32_e32 vcc, 1, v10
	v_cndmask_b32_e32 v7, v8, v7, vcc
	v_and_b32_e32 v8, 7, v7
	v_cmp_lt_i32_e32 vcc, 5, v8
	v_cmp_eq_u32_e64 s[0:1], 3, v8
	v_lshrrev_b32_e32 v7, 2, v7
	s_or_b64 vcc, s[0:1], vcc
	v_addc_co_u32_e32 v7, vcc, 0, v7, vcc
	v_cmp_gt_i32_e32 vcc, 31, v10
	v_cndmask_b32_e32 v11, v0, v7, vcc
	ds_read2_b32 v[7:8], v18 offset0:32 offset1:80
	v_cmp_ne_u32_e32 vcc, 0, v5
	v_cndmask_b32_e64 v5, 0, 1, vcc
	v_lshl_or_b32 v5, v5, 9, v0
	v_cmp_eq_u32_e32 vcc, s8, v10
	s_waitcnt lgkmcnt(0)
	v_lshrrev_b32_e32 v10, 16, v7
	v_cndmask_b32_e32 v5, v11, v5, vcc
	v_mul_f16_sdwa v11, v43, v10 dst_sel:DWORD dst_unused:UNUSED_PAD src0_sel:WORD_1 src1_sel:DWORD
	v_fma_f16 v11, v43, v7, v11
	v_cvt_f32_f16_e32 v11, v11
	v_lshrrev_b32_e32 v6, 16, v6
	v_and_or_b32 v5, v6, s9, v5
	v_and_b32_e32 v6, 0xffff, v9
	v_lshl_or_b32 v9, v5, 16, v6
	v_cvt_f64_f32_e32 v[5:6], v11
	s_mul_i32 s0, s5, 0x180
	s_mul_hi_u32 s12, s4, 0x180
	s_add_i32 s12, s12, s0
	v_mul_f64 v[5:6], v[5:6], s[2:3]
	s_mul_i32 s13, s4, 0x180
	v_mov_b32_e32 v11, s12
	v_add_co_u32_e32 v3, vcc, s13, v3
	v_addc_co_u32_e32 v4, vcc, v4, v11, vcc
	global_store_dword v[3:4], v9, off
	v_and_or_b32 v5, v6, s6, v5
	v_cmp_ne_u32_e32 vcc, 0, v5
	v_cndmask_b32_e64 v5, 0, 1, vcc
	v_lshrrev_b32_e32 v9, 8, v6
	v_bfe_u32 v11, v6, 20, 11
	v_and_or_b32 v5, v9, s7, v5
	v_sub_u32_e32 v12, 0x3f1, v11
	v_or_b32_e32 v9, 0x1000, v5
	v_med3_i32 v12, v12, 0, 13
	v_lshrrev_b32_e32 v13, v12, v9
	v_lshlrev_b32_e32 v12, v12, v13
	v_mul_f16_sdwa v7, v43, v7 dst_sel:DWORD dst_unused:UNUSED_PAD src0_sel:WORD_1 src1_sel:DWORD
	v_cmp_ne_u32_e32 vcc, v12, v9
	v_fma_f16 v7, v43, v10, -v7
	v_cndmask_b32_e64 v9, 0, 1, vcc
	v_add_u32_e32 v11, 0xfffffc10, v11
	v_cvt_f32_f16_e32 v7, v7
	v_or_b32_e32 v9, v13, v9
	v_lshl_or_b32 v12, v11, 12, v5
	v_cmp_gt_i32_e32 vcc, 1, v11
	v_cndmask_b32_e32 v9, v12, v9, vcc
	v_and_b32_e32 v12, 7, v9
	v_cmp_lt_i32_e32 vcc, 5, v12
	v_cmp_eq_u32_e64 s[0:1], 3, v12
	v_lshrrev_b32_e32 v12, 2, v9
	v_cvt_f64_f32_e32 v[9:10], v7
	s_or_b64 vcc, s[0:1], vcc
	v_addc_co_u32_e32 v7, vcc, 0, v12, vcc
	v_mul_f64 v[9:10], v[9:10], s[2:3]
	v_cmp_gt_i32_e32 vcc, 31, v11
	v_cndmask_b32_e32 v7, v0, v7, vcc
	v_cmp_ne_u32_e32 vcc, 0, v5
	v_cndmask_b32_e64 v5, 0, 1, vcc
	v_lshl_or_b32 v5, v5, 9, v0
	v_cmp_eq_u32_e32 vcc, s8, v11
	v_cndmask_b32_e32 v5, v7, v5, vcc
	v_lshrrev_b32_e32 v6, 16, v6
	v_and_or_b32 v7, v6, s9, v5
	v_and_or_b32 v5, v10, s6, v9
	v_cmp_ne_u32_e32 vcc, 0, v5
	v_cndmask_b32_e64 v5, 0, 1, vcc
	v_lshrrev_b32_e32 v6, 8, v10
	v_bfe_u32 v9, v10, 20, 11
	v_and_or_b32 v5, v6, s7, v5
	v_sub_u32_e32 v11, 0x3f1, v9
	v_or_b32_e32 v6, 0x1000, v5
	v_med3_i32 v11, v11, 0, 13
	v_lshrrev_b32_e32 v12, v11, v6
	v_lshlrev_b32_e32 v11, v11, v12
	v_cmp_ne_u32_e32 vcc, v11, v6
	v_cndmask_b32_e64 v6, 0, 1, vcc
	v_add_u32_e32 v9, 0xfffffc10, v9
	v_or_b32_e32 v6, v12, v6
	v_lshl_or_b32 v11, v9, 12, v5
	v_cmp_gt_i32_e32 vcc, 1, v9
	v_cndmask_b32_e32 v6, v11, v6, vcc
	v_and_b32_e32 v11, 7, v6
	v_cmp_lt_i32_e32 vcc, 5, v11
	v_cmp_eq_u32_e64 s[0:1], 3, v11
	v_lshrrev_b32_e32 v11, 16, v8
	v_lshrrev_b32_e32 v6, 2, v6
	s_or_b64 vcc, s[0:1], vcc
	v_mul_f16_sdwa v12, v41, v11 dst_sel:DWORD dst_unused:UNUSED_PAD src0_sel:WORD_1 src1_sel:DWORD
	v_addc_co_u32_e32 v6, vcc, 0, v6, vcc
	v_fma_f16 v12, v41, v8, v12
	v_cmp_gt_i32_e32 vcc, 31, v9
	v_cvt_f32_f16_e32 v12, v12
	v_cndmask_b32_e32 v6, v0, v6, vcc
	v_cmp_ne_u32_e32 vcc, 0, v5
	v_cndmask_b32_e64 v5, 0, 1, vcc
	v_lshl_or_b32 v5, v5, 9, v0
	v_cmp_eq_u32_e32 vcc, s8, v9
	v_cndmask_b32_e32 v9, v6, v5, vcc
	v_cvt_f64_f32_e32 v[5:6], v12
	v_lshrrev_b32_e32 v10, 16, v10
	v_and_or_b32 v9, v10, s9, v9
	v_and_b32_e32 v7, 0xffff, v7
	v_mul_f64 v[5:6], v[5:6], s[2:3]
	v_lshl_or_b32 v7, v9, 16, v7
	v_mov_b32_e32 v9, s10
	v_add_co_u32_e32 v3, vcc, s11, v3
	v_addc_co_u32_e32 v4, vcc, v4, v9, vcc
	global_store_dword v[3:4], v7, off
	v_and_or_b32 v5, v6, s6, v5
	v_cmp_ne_u32_e32 vcc, 0, v5
	v_cndmask_b32_e64 v5, 0, 1, vcc
	v_lshrrev_b32_e32 v7, 8, v6
	v_bfe_u32 v9, v6, 20, 11
	v_and_or_b32 v5, v7, s7, v5
	v_sub_u32_e32 v10, 0x3f1, v9
	v_or_b32_e32 v7, 0x1000, v5
	v_med3_i32 v10, v10, 0, 13
	v_lshrrev_b32_e32 v12, v10, v7
	v_lshlrev_b32_e32 v10, v10, v12
	v_mul_f16_sdwa v8, v41, v8 dst_sel:DWORD dst_unused:UNUSED_PAD src0_sel:WORD_1 src1_sel:DWORD
	v_cmp_ne_u32_e32 vcc, v10, v7
	v_fma_f16 v8, v41, v11, -v8
	v_cndmask_b32_e64 v7, 0, 1, vcc
	v_add_u32_e32 v9, 0xfffffc10, v9
	v_cvt_f32_f16_e32 v8, v8
	v_or_b32_e32 v7, v12, v7
	v_lshl_or_b32 v10, v9, 12, v5
	v_cmp_gt_i32_e32 vcc, 1, v9
	v_cndmask_b32_e32 v7, v10, v7, vcc
	v_and_b32_e32 v10, 7, v7
	v_cmp_lt_i32_e32 vcc, 5, v10
	v_cmp_eq_u32_e64 s[0:1], 3, v10
	v_lshrrev_b32_e32 v10, 2, v7
	v_cvt_f64_f32_e32 v[7:8], v8
	s_or_b64 vcc, s[0:1], vcc
	v_addc_co_u32_e32 v10, vcc, 0, v10, vcc
	v_mul_f64 v[7:8], v[7:8], s[2:3]
	v_cmp_gt_i32_e32 vcc, 31, v9
	v_cndmask_b32_e32 v10, v0, v10, vcc
	v_cmp_ne_u32_e32 vcc, 0, v5
	v_cndmask_b32_e64 v5, 0, 1, vcc
	v_lshl_or_b32 v5, v5, 9, v0
	v_cmp_eq_u32_e32 vcc, s8, v9
	v_cndmask_b32_e32 v5, v10, v5, vcc
	v_lshrrev_b32_e32 v6, 16, v6
	v_and_or_b32 v11, v6, s9, v5
	v_and_or_b32 v5, v8, s6, v7
	v_cmp_ne_u32_e32 vcc, 0, v5
	v_cndmask_b32_e64 v5, 0, 1, vcc
	v_lshrrev_b32_e32 v6, 8, v8
	v_and_or_b32 v7, v6, s7, v5
	v_bfe_u32 v6, v8, 20, 11
	v_sub_u32_e32 v9, 0x3f1, v6
	v_or_b32_e32 v5, 0x1000, v7
	v_med3_i32 v9, v9, 0, 13
	v_lshrrev_b32_e32 v10, v9, v5
	v_lshlrev_b32_e32 v9, v9, v10
	v_cmp_ne_u32_e32 vcc, v9, v5
	v_cndmask_b32_e64 v5, 0, 1, vcc
	v_add_u32_e32 v9, 0xfffffc10, v6
	v_or_b32_e32 v5, v10, v5
	v_lshl_or_b32 v6, v9, 12, v7
	v_cmp_gt_i32_e32 vcc, 1, v9
	v_cndmask_b32_e32 v5, v6, v5, vcc
	v_and_b32_e32 v6, 7, v5
	v_cmp_lt_i32_e32 vcc, 5, v6
	v_cmp_eq_u32_e64 s[0:1], 3, v6
	v_lshrrev_b32_e32 v5, 2, v5
	s_or_b64 vcc, s[0:1], vcc
	v_addc_co_u32_e32 v10, vcc, 0, v5, vcc
	ds_read2_b32 v[5:6], v18 offset0:128 offset1:176
	v_cmp_gt_i32_e32 vcc, 31, v9
	v_cndmask_b32_e32 v10, v0, v10, vcc
	v_cmp_ne_u32_e32 vcc, 0, v7
	v_cndmask_b32_e64 v7, 0, 1, vcc
	s_waitcnt lgkmcnt(0)
	v_lshrrev_b32_e32 v12, 16, v5
	v_mul_f16_sdwa v13, v42, v12 dst_sel:DWORD dst_unused:UNUSED_PAD src0_sel:WORD_1 src1_sel:DWORD
	v_fma_f16 v13, v42, v5, v13
	v_cvt_f32_f16_e32 v13, v13
	v_lshl_or_b32 v7, v7, 9, v0
	v_cmp_eq_u32_e32 vcc, s8, v9
	v_cndmask_b32_e32 v7, v10, v7, vcc
	v_cvt_f64_f32_e32 v[9:10], v13
	v_lshrrev_b32_e32 v8, 16, v8
	v_and_or_b32 v13, v8, s9, v7
	v_add_co_u32_e32 v3, vcc, s11, v3
	v_mul_f64 v[7:8], v[9:10], s[2:3]
	v_mov_b32_e32 v10, s10
	v_and_b32_e32 v11, 0xffff, v11
	v_addc_co_u32_e32 v4, vcc, v4, v10, vcc
	v_lshl_or_b32 v9, v13, 16, v11
	global_store_dword v[3:4], v9, off
	v_mul_f16_sdwa v5, v42, v5 dst_sel:DWORD dst_unused:UNUSED_PAD src0_sel:WORD_1 src1_sel:DWORD
	v_and_or_b32 v7, v8, s6, v7
	v_cmp_ne_u32_e32 vcc, 0, v7
	v_cndmask_b32_e64 v7, 0, 1, vcc
	v_lshrrev_b32_e32 v9, 8, v8
	v_bfe_u32 v10, v8, 20, 11
	v_and_or_b32 v7, v9, s7, v7
	v_sub_u32_e32 v11, 0x3f1, v10
	v_or_b32_e32 v9, 0x1000, v7
	v_med3_i32 v11, v11, 0, 13
	v_lshrrev_b32_e32 v13, v11, v9
	v_lshlrev_b32_e32 v11, v11, v13
	v_cmp_ne_u32_e32 vcc, v11, v9
	v_fma_f16 v5, v42, v12, -v5
	v_cndmask_b32_e64 v9, 0, 1, vcc
	v_add_u32_e32 v11, 0xfffffc10, v10
	v_cvt_f32_f16_e32 v5, v5
	v_or_b32_e32 v9, v13, v9
	v_lshl_or_b32 v10, v11, 12, v7
	v_cmp_gt_i32_e32 vcc, 1, v11
	v_cndmask_b32_e32 v9, v10, v9, vcc
	v_and_b32_e32 v10, 7, v9
	v_cmp_lt_i32_e32 vcc, 5, v10
	v_cmp_eq_u32_e64 s[0:1], 3, v10
	v_lshrrev_b32_e32 v12, 2, v9
	v_cvt_f64_f32_e32 v[9:10], v5
	s_or_b64 vcc, s[0:1], vcc
	v_addc_co_u32_e32 v5, vcc, 0, v12, vcc
	v_mul_f64 v[9:10], v[9:10], s[2:3]
	v_cmp_gt_i32_e32 vcc, 31, v11
	v_cndmask_b32_e32 v5, v0, v5, vcc
	v_cmp_ne_u32_e32 vcc, 0, v7
	v_cndmask_b32_e64 v7, 0, 1, vcc
	v_lshl_or_b32 v7, v7, 9, v0
	v_cmp_eq_u32_e32 vcc, s8, v11
	v_cndmask_b32_e32 v5, v5, v7, vcc
	v_lshrrev_b32_e32 v7, 16, v8
	v_and_or_b32 v11, v7, s9, v5
	v_and_or_b32 v5, v10, s6, v9
	v_cmp_ne_u32_e32 vcc, 0, v5
	v_cndmask_b32_e64 v5, 0, 1, vcc
	v_lshrrev_b32_e32 v7, 8, v10
	v_bfe_u32 v8, v10, 20, 11
	v_and_or_b32 v5, v7, s7, v5
	v_sub_u32_e32 v9, 0x3f1, v8
	v_or_b32_e32 v7, 0x1000, v5
	v_med3_i32 v9, v9, 0, 13
	v_lshrrev_b32_e32 v12, v9, v7
	v_lshlrev_b32_e32 v9, v9, v12
	v_cmp_ne_u32_e32 vcc, v9, v7
	v_cndmask_b32_e64 v7, 0, 1, vcc
	v_add_u32_e32 v9, 0xfffffc10, v8
	v_or_b32_e32 v7, v12, v7
	v_lshl_or_b32 v8, v9, 12, v5
	v_cmp_gt_i32_e32 vcc, 1, v9
	v_cndmask_b32_e32 v7, v8, v7, vcc
	v_and_b32_e32 v8, 7, v7
	v_cmp_lt_i32_e32 vcc, 5, v8
	v_cmp_eq_u32_e64 s[0:1], 3, v8
	v_lshrrev_b32_e32 v7, 2, v7
	s_or_b64 vcc, s[0:1], vcc
	v_addc_co_u32_e32 v7, vcc, 0, v7, vcc
	v_cmp_gt_i32_e32 vcc, 31, v9
	v_cndmask_b32_e32 v12, v0, v7, vcc
	v_mad_u64_u32 v[7:8], s[0:1], s4, v39, 0
	v_cmp_ne_u32_e32 vcc, 0, v5
	v_cndmask_b32_e64 v5, 0, 1, vcc
	v_lshl_or_b32 v5, v5, 9, v0
	v_cmp_eq_u32_e32 vcc, s8, v9
	v_lshrrev_b32_e32 v13, 16, v6
	v_cndmask_b32_e32 v12, v12, v5, vcc
	v_mov_b32_e32 v5, v8
	v_mul_f16_sdwa v8, v40, v13 dst_sel:DWORD dst_unused:UNUSED_PAD src0_sel:WORD_1 src1_sel:DWORD
	v_fma_f16 v8, v40, v6, v8
	v_cvt_f32_f16_e32 v14, v8
	v_mad_u64_u32 v[8:9], s[0:1], s5, v39, v[5:6]
	v_lshrrev_b32_e32 v5, 16, v10
	v_cvt_f64_f32_e32 v[9:10], v14
	v_lshlrev_b64 v[7:8], 2, v[7:8]
	v_and_or_b32 v5, v5, s9, v12
	v_and_b32_e32 v11, 0xffff, v11
	v_mul_f64 v[9:10], v[9:10], s[2:3]
	v_add_co_u32_e32 v7, vcc, v1, v7
	v_lshl_or_b32 v5, v5, 16, v11
	v_addc_co_u32_e32 v8, vcc, v2, v8, vcc
	global_store_dword v[7:8], v5, off
	v_mul_f16_sdwa v6, v40, v6 dst_sel:DWORD dst_unused:UNUSED_PAD src0_sel:WORD_1 src1_sel:DWORD
	v_and_or_b32 v5, v10, s6, v9
	v_cmp_ne_u32_e32 vcc, 0, v5
	v_cndmask_b32_e64 v5, 0, 1, vcc
	v_lshrrev_b32_e32 v7, 8, v10
	v_bfe_u32 v8, v10, 20, 11
	v_and_or_b32 v7, v7, s7, v5
	v_sub_u32_e32 v9, 0x3f1, v8
	v_or_b32_e32 v5, 0x1000, v7
	v_med3_i32 v9, v9, 0, 13
	v_lshrrev_b32_e32 v11, v9, v5
	v_lshlrev_b32_e32 v9, v9, v11
	v_cmp_ne_u32_e32 vcc, v9, v5
	v_fma_f16 v6, v40, v13, -v6
	v_cndmask_b32_e64 v5, 0, 1, vcc
	v_add_u32_e32 v8, 0xfffffc10, v8
	v_cvt_f32_f16_e32 v6, v6
	v_or_b32_e32 v5, v11, v5
	v_lshl_or_b32 v9, v8, 12, v7
	v_cmp_gt_i32_e32 vcc, 1, v8
	v_cndmask_b32_e32 v5, v9, v5, vcc
	v_and_b32_e32 v9, 7, v5
	v_cmp_lt_i32_e32 vcc, 5, v9
	v_cmp_eq_u32_e64 s[0:1], 3, v9
	v_lshrrev_b32_e32 v9, 2, v5
	v_cvt_f64_f32_e32 v[5:6], v6
	s_or_b64 vcc, s[0:1], vcc
	v_addc_co_u32_e32 v9, vcc, 0, v9, vcc
	v_mul_f64 v[5:6], v[5:6], s[2:3]
	v_cmp_gt_i32_e32 vcc, 31, v8
	v_cndmask_b32_e32 v9, v0, v9, vcc
	v_cmp_ne_u32_e32 vcc, 0, v7
	v_cndmask_b32_e64 v7, 0, 1, vcc
	v_lshl_or_b32 v7, v7, 9, v0
	v_cmp_eq_u32_e32 vcc, s8, v8
	v_cndmask_b32_e32 v7, v9, v7, vcc
	v_and_or_b32 v5, v6, s6, v5
	v_lshrrev_b32_e32 v8, 16, v10
	v_cmp_ne_u32_e32 vcc, 0, v5
	v_and_or_b32 v11, v8, s9, v7
	v_cndmask_b32_e64 v5, 0, 1, vcc
	v_lshrrev_b32_e32 v7, 8, v6
	v_bfe_u32 v8, v6, 20, 11
	v_and_or_b32 v5, v7, s7, v5
	v_sub_u32_e32 v9, 0x3f1, v8
	v_or_b32_e32 v7, 0x1000, v5
	v_med3_i32 v9, v9, 0, 13
	v_lshrrev_b32_e32 v10, v9, v7
	v_lshlrev_b32_e32 v9, v9, v10
	v_cmp_ne_u32_e32 vcc, v9, v7
	v_cndmask_b32_e64 v7, 0, 1, vcc
	v_add_u32_e32 v9, 0xfffffc10, v8
	v_or_b32_e32 v7, v10, v7
	v_lshl_or_b32 v8, v9, 12, v5
	v_cmp_gt_i32_e32 vcc, 1, v9
	v_cndmask_b32_e32 v7, v8, v7, vcc
	v_and_b32_e32 v8, 7, v7
	v_cmp_lt_i32_e32 vcc, 5, v8
	v_cmp_eq_u32_e64 s[0:1], 3, v8
	v_lshrrev_b32_e32 v7, 2, v7
	s_or_b64 vcc, s[0:1], vcc
	v_addc_co_u32_e32 v10, vcc, 0, v7, vcc
	ds_read2_b32 v[7:8], v17 offset0:96 offset1:144
	v_cmp_gt_i32_e32 vcc, 31, v9
	v_cndmask_b32_e32 v10, v0, v10, vcc
	v_cmp_ne_u32_e32 vcc, 0, v5
	v_cndmask_b32_e64 v5, 0, 1, vcc
	s_waitcnt lgkmcnt(0)
	v_lshrrev_b32_e32 v12, 16, v7
	v_mul_f16_sdwa v13, v38, v12 dst_sel:DWORD dst_unused:UNUSED_PAD src0_sel:WORD_1 src1_sel:DWORD
	v_fma_f16 v13, v38, v7, v13
	v_cvt_f32_f16_e32 v13, v13
	v_lshl_or_b32 v5, v5, 9, v0
	v_cmp_eq_u32_e32 vcc, s8, v9
	v_cndmask_b32_e32 v5, v10, v5, vcc
	v_cvt_f64_f32_e32 v[9:10], v13
	v_lshrrev_b32_e32 v6, 16, v6
	v_and_or_b32 v13, v6, s9, v5
	v_add_co_u32_e32 v3, vcc, s13, v3
	v_mul_f64 v[5:6], v[9:10], s[2:3]
	v_mov_b32_e32 v10, s12
	v_and_b32_e32 v11, 0xffff, v11
	v_addc_co_u32_e32 v4, vcc, v4, v10, vcc
	v_lshl_or_b32 v9, v13, 16, v11
	global_store_dword v[3:4], v9, off
	v_mul_f16_sdwa v7, v38, v7 dst_sel:DWORD dst_unused:UNUSED_PAD src0_sel:WORD_1 src1_sel:DWORD
	v_and_or_b32 v5, v6, s6, v5
	v_cmp_ne_u32_e32 vcc, 0, v5
	v_cndmask_b32_e64 v5, 0, 1, vcc
	v_lshrrev_b32_e32 v9, 8, v6
	v_bfe_u32 v10, v6, 20, 11
	v_and_or_b32 v5, v9, s7, v5
	v_sub_u32_e32 v11, 0x3f1, v10
	v_or_b32_e32 v9, 0x1000, v5
	v_med3_i32 v11, v11, 0, 13
	v_lshrrev_b32_e32 v13, v11, v9
	v_lshlrev_b32_e32 v11, v11, v13
	v_cmp_ne_u32_e32 vcc, v11, v9
	v_fma_f16 v7, v38, v12, -v7
	v_cndmask_b32_e64 v9, 0, 1, vcc
	v_add_u32_e32 v11, 0xfffffc10, v10
	v_cvt_f32_f16_e32 v7, v7
	v_or_b32_e32 v9, v13, v9
	v_lshl_or_b32 v10, v11, 12, v5
	v_cmp_gt_i32_e32 vcc, 1, v11
	v_cndmask_b32_e32 v9, v10, v9, vcc
	v_and_b32_e32 v10, 7, v9
	v_cmp_lt_i32_e32 vcc, 5, v10
	v_cmp_eq_u32_e64 s[0:1], 3, v10
	v_lshrrev_b32_e32 v12, 2, v9
	v_cvt_f64_f32_e32 v[9:10], v7
	s_or_b64 vcc, s[0:1], vcc
	v_addc_co_u32_e32 v7, vcc, 0, v12, vcc
	v_mul_f64 v[9:10], v[9:10], s[2:3]
	v_cmp_gt_i32_e32 vcc, 31, v11
	v_cndmask_b32_e32 v7, v0, v7, vcc
	v_cmp_ne_u32_e32 vcc, 0, v5
	v_cndmask_b32_e64 v5, 0, 1, vcc
	v_lshl_or_b32 v5, v5, 9, v0
	v_cmp_eq_u32_e32 vcc, s8, v11
	v_cndmask_b32_e32 v5, v7, v5, vcc
	v_lshrrev_b32_e32 v6, 16, v6
	v_and_or_b32 v7, v6, s9, v5
	v_and_or_b32 v5, v10, s6, v9
	v_cmp_ne_u32_e32 vcc, 0, v5
	v_cndmask_b32_e64 v5, 0, 1, vcc
	v_lshrrev_b32_e32 v6, 8, v10
	v_bfe_u32 v9, v10, 20, 11
	v_and_or_b32 v5, v6, s7, v5
	v_sub_u32_e32 v11, 0x3f1, v9
	v_or_b32_e32 v6, 0x1000, v5
	v_med3_i32 v11, v11, 0, 13
	v_lshrrev_b32_e32 v12, v11, v6
	v_lshlrev_b32_e32 v11, v11, v12
	v_cmp_ne_u32_e32 vcc, v11, v6
	v_cndmask_b32_e64 v6, 0, 1, vcc
	v_add_u32_e32 v9, 0xfffffc10, v9
	v_or_b32_e32 v6, v12, v6
	v_lshl_or_b32 v11, v9, 12, v5
	v_cmp_gt_i32_e32 vcc, 1, v9
	v_cndmask_b32_e32 v6, v11, v6, vcc
	v_and_b32_e32 v11, 7, v6
	v_cmp_lt_i32_e32 vcc, 5, v11
	v_cmp_eq_u32_e64 s[0:1], 3, v11
	v_lshrrev_b32_e32 v11, 16, v8
	v_lshrrev_b32_e32 v6, 2, v6
	s_or_b64 vcc, s[0:1], vcc
	v_mul_f16_sdwa v12, v37, v11 dst_sel:DWORD dst_unused:UNUSED_PAD src0_sel:WORD_1 src1_sel:DWORD
	v_addc_co_u32_e32 v6, vcc, 0, v6, vcc
	v_fma_f16 v12, v37, v8, v12
	v_cmp_gt_i32_e32 vcc, 31, v9
	v_cvt_f32_f16_e32 v12, v12
	v_cndmask_b32_e32 v6, v0, v6, vcc
	v_cmp_ne_u32_e32 vcc, 0, v5
	v_cndmask_b32_e64 v5, 0, 1, vcc
	v_lshl_or_b32 v5, v5, 9, v0
	v_cmp_eq_u32_e32 vcc, s8, v9
	v_cndmask_b32_e32 v9, v6, v5, vcc
	v_cvt_f64_f32_e32 v[5:6], v12
	v_lshrrev_b32_e32 v10, 16, v10
	v_and_or_b32 v9, v10, s9, v9
	v_and_b32_e32 v7, 0xffff, v7
	v_mul_f64 v[5:6], v[5:6], s[2:3]
	v_lshl_or_b32 v7, v9, 16, v7
	v_mov_b32_e32 v9, s10
	v_add_co_u32_e32 v3, vcc, s11, v3
	v_addc_co_u32_e32 v4, vcc, v4, v9, vcc
	global_store_dword v[3:4], v7, off
	v_and_or_b32 v5, v6, s6, v5
	v_cmp_ne_u32_e32 vcc, 0, v5
	v_cndmask_b32_e64 v5, 0, 1, vcc
	v_lshrrev_b32_e32 v7, 8, v6
	v_bfe_u32 v9, v6, 20, 11
	v_and_or_b32 v5, v7, s7, v5
	v_sub_u32_e32 v10, 0x3f1, v9
	v_or_b32_e32 v7, 0x1000, v5
	v_med3_i32 v10, v10, 0, 13
	v_lshrrev_b32_e32 v12, v10, v7
	v_lshlrev_b32_e32 v10, v10, v12
	v_mul_f16_sdwa v8, v37, v8 dst_sel:DWORD dst_unused:UNUSED_PAD src0_sel:WORD_1 src1_sel:DWORD
	v_cmp_ne_u32_e32 vcc, v10, v7
	v_fma_f16 v8, v37, v11, -v8
	v_cndmask_b32_e64 v7, 0, 1, vcc
	v_add_u32_e32 v9, 0xfffffc10, v9
	v_cvt_f32_f16_e32 v8, v8
	v_or_b32_e32 v7, v12, v7
	v_lshl_or_b32 v10, v9, 12, v5
	v_cmp_gt_i32_e32 vcc, 1, v9
	v_cndmask_b32_e32 v7, v10, v7, vcc
	v_and_b32_e32 v10, 7, v7
	v_cmp_lt_i32_e32 vcc, 5, v10
	v_cmp_eq_u32_e64 s[0:1], 3, v10
	v_lshrrev_b32_e32 v10, 2, v7
	v_cvt_f64_f32_e32 v[7:8], v8
	s_or_b64 vcc, s[0:1], vcc
	v_addc_co_u32_e32 v10, vcc, 0, v10, vcc
	v_mul_f64 v[7:8], v[7:8], s[2:3]
	v_cmp_gt_i32_e32 vcc, 31, v9
	v_cndmask_b32_e32 v10, v0, v10, vcc
	v_cmp_ne_u32_e32 vcc, 0, v5
	v_cndmask_b32_e64 v5, 0, 1, vcc
	v_lshl_or_b32 v5, v5, 9, v0
	v_cmp_eq_u32_e32 vcc, s8, v9
	v_cndmask_b32_e32 v5, v10, v5, vcc
	v_lshrrev_b32_e32 v6, 16, v6
	v_and_or_b32 v11, v6, s9, v5
	v_and_or_b32 v5, v8, s6, v7
	v_cmp_ne_u32_e32 vcc, 0, v5
	v_cndmask_b32_e64 v5, 0, 1, vcc
	v_lshrrev_b32_e32 v6, 8, v8
	v_and_or_b32 v7, v6, s7, v5
	v_bfe_u32 v6, v8, 20, 11
	v_sub_u32_e32 v9, 0x3f1, v6
	v_or_b32_e32 v5, 0x1000, v7
	v_med3_i32 v9, v9, 0, 13
	v_lshrrev_b32_e32 v10, v9, v5
	v_lshlrev_b32_e32 v9, v9, v10
	v_cmp_ne_u32_e32 vcc, v9, v5
	v_cndmask_b32_e64 v5, 0, 1, vcc
	v_add_u32_e32 v9, 0xfffffc10, v6
	v_or_b32_e32 v5, v10, v5
	v_lshl_or_b32 v6, v9, 12, v7
	v_cmp_gt_i32_e32 vcc, 1, v9
	v_cndmask_b32_e32 v5, v6, v5, vcc
	v_and_b32_e32 v6, 7, v5
	v_cmp_lt_i32_e32 vcc, 5, v6
	v_cmp_eq_u32_e64 s[0:1], 3, v6
	v_lshrrev_b32_e32 v5, 2, v5
	s_or_b64 vcc, s[0:1], vcc
	v_addc_co_u32_e32 v10, vcc, 0, v5, vcc
	ds_read2_b32 v[5:6], v16 offset0:64 offset1:112
	v_cmp_gt_i32_e32 vcc, 31, v9
	v_cndmask_b32_e32 v10, v0, v10, vcc
	v_cmp_ne_u32_e32 vcc, 0, v7
	v_cndmask_b32_e64 v7, 0, 1, vcc
	s_waitcnt lgkmcnt(0)
	v_lshrrev_b32_e32 v12, 16, v5
	v_mul_f16_sdwa v13, v36, v12 dst_sel:DWORD dst_unused:UNUSED_PAD src0_sel:WORD_1 src1_sel:DWORD
	v_fma_f16 v13, v36, v5, v13
	v_cvt_f32_f16_e32 v13, v13
	v_lshl_or_b32 v7, v7, 9, v0
	v_cmp_eq_u32_e32 vcc, s8, v9
	v_cndmask_b32_e32 v7, v10, v7, vcc
	v_cvt_f64_f32_e32 v[9:10], v13
	v_lshrrev_b32_e32 v8, 16, v8
	v_and_or_b32 v13, v8, s9, v7
	v_add_co_u32_e32 v3, vcc, s11, v3
	v_mul_f64 v[7:8], v[9:10], s[2:3]
	v_mov_b32_e32 v10, s10
	v_and_b32_e32 v11, 0xffff, v11
	v_addc_co_u32_e32 v4, vcc, v4, v10, vcc
	v_lshl_or_b32 v9, v13, 16, v11
	global_store_dword v[3:4], v9, off
	v_mul_f16_sdwa v5, v36, v5 dst_sel:DWORD dst_unused:UNUSED_PAD src0_sel:WORD_1 src1_sel:DWORD
	v_and_or_b32 v7, v8, s6, v7
	v_cmp_ne_u32_e32 vcc, 0, v7
	v_cndmask_b32_e64 v7, 0, 1, vcc
	v_lshrrev_b32_e32 v9, 8, v8
	v_bfe_u32 v10, v8, 20, 11
	v_and_or_b32 v7, v9, s7, v7
	v_sub_u32_e32 v11, 0x3f1, v10
	v_or_b32_e32 v9, 0x1000, v7
	v_med3_i32 v11, v11, 0, 13
	v_lshrrev_b32_e32 v13, v11, v9
	v_lshlrev_b32_e32 v11, v11, v13
	v_cmp_ne_u32_e32 vcc, v11, v9
	v_fma_f16 v5, v36, v12, -v5
	v_cndmask_b32_e64 v9, 0, 1, vcc
	v_add_u32_e32 v11, 0xfffffc10, v10
	v_cvt_f32_f16_e32 v5, v5
	v_or_b32_e32 v9, v13, v9
	v_lshl_or_b32 v10, v11, 12, v7
	v_cmp_gt_i32_e32 vcc, 1, v11
	v_cndmask_b32_e32 v9, v10, v9, vcc
	v_and_b32_e32 v10, 7, v9
	v_cmp_lt_i32_e32 vcc, 5, v10
	v_cmp_eq_u32_e64 s[0:1], 3, v10
	v_lshrrev_b32_e32 v12, 2, v9
	v_cvt_f64_f32_e32 v[9:10], v5
	s_or_b64 vcc, s[0:1], vcc
	v_addc_co_u32_e32 v5, vcc, 0, v12, vcc
	v_mul_f64 v[9:10], v[9:10], s[2:3]
	v_cmp_gt_i32_e32 vcc, 31, v11
	v_cndmask_b32_e32 v5, v0, v5, vcc
	v_cmp_ne_u32_e32 vcc, 0, v7
	v_cndmask_b32_e64 v7, 0, 1, vcc
	v_lshl_or_b32 v7, v7, 9, v0
	v_cmp_eq_u32_e32 vcc, s8, v11
	v_cndmask_b32_e32 v5, v5, v7, vcc
	v_lshrrev_b32_e32 v7, 16, v8
	v_and_or_b32 v11, v7, s9, v5
	v_and_or_b32 v5, v10, s6, v9
	v_cmp_ne_u32_e32 vcc, 0, v5
	v_cndmask_b32_e64 v5, 0, 1, vcc
	v_lshrrev_b32_e32 v7, 8, v10
	v_bfe_u32 v8, v10, 20, 11
	v_and_or_b32 v5, v7, s7, v5
	v_sub_u32_e32 v9, 0x3f1, v8
	v_or_b32_e32 v7, 0x1000, v5
	v_med3_i32 v9, v9, 0, 13
	v_lshrrev_b32_e32 v12, v9, v7
	v_lshlrev_b32_e32 v9, v9, v12
	v_cmp_ne_u32_e32 vcc, v9, v7
	v_cndmask_b32_e64 v7, 0, 1, vcc
	v_add_u32_e32 v9, 0xfffffc10, v8
	v_or_b32_e32 v7, v12, v7
	v_lshl_or_b32 v8, v9, 12, v5
	v_cmp_gt_i32_e32 vcc, 1, v9
	v_cndmask_b32_e32 v7, v8, v7, vcc
	v_and_b32_e32 v8, 7, v7
	v_cmp_lt_i32_e32 vcc, 5, v8
	v_cmp_eq_u32_e64 s[0:1], 3, v8
	v_lshrrev_b32_e32 v7, 2, v7
	s_or_b64 vcc, s[0:1], vcc
	v_addc_co_u32_e32 v7, vcc, 0, v7, vcc
	v_cmp_gt_i32_e32 vcc, 31, v9
	v_cndmask_b32_e32 v12, v0, v7, vcc
	v_mad_u64_u32 v[7:8], s[0:1], s4, v34, 0
	v_cmp_ne_u32_e32 vcc, 0, v5
	v_cndmask_b32_e64 v5, 0, 1, vcc
	v_lshl_or_b32 v5, v5, 9, v0
	v_cmp_eq_u32_e32 vcc, s8, v9
	v_lshrrev_b32_e32 v13, 16, v6
	v_cndmask_b32_e32 v12, v12, v5, vcc
	v_mov_b32_e32 v5, v8
	v_mul_f16_sdwa v8, v35, v13 dst_sel:DWORD dst_unused:UNUSED_PAD src0_sel:WORD_1 src1_sel:DWORD
	v_fma_f16 v8, v35, v6, v8
	v_cvt_f32_f16_e32 v14, v8
	v_mad_u64_u32 v[8:9], s[0:1], s5, v34, v[5:6]
	v_lshrrev_b32_e32 v5, 16, v10
	v_cvt_f64_f32_e32 v[9:10], v14
	v_lshlrev_b64 v[7:8], 2, v[7:8]
	v_and_or_b32 v5, v5, s9, v12
	v_and_b32_e32 v11, 0xffff, v11
	v_mul_f64 v[9:10], v[9:10], s[2:3]
	v_add_co_u32_e32 v1, vcc, v1, v7
	v_lshl_or_b32 v5, v5, 16, v11
	v_addc_co_u32_e32 v2, vcc, v2, v8, vcc
	global_store_dword v[1:2], v5, off
	v_mul_f16_sdwa v6, v35, v6 dst_sel:DWORD dst_unused:UNUSED_PAD src0_sel:WORD_1 src1_sel:DWORD
	v_and_or_b32 v1, v10, s6, v9
	v_cmp_ne_u32_e32 vcc, 0, v1
	v_cndmask_b32_e64 v1, 0, 1, vcc
	v_lshrrev_b32_e32 v2, 8, v10
	v_and_or_b32 v5, v2, s7, v1
	v_bfe_u32 v2, v10, 20, 11
	v_sub_u32_e32 v7, 0x3f1, v2
	v_or_b32_e32 v1, 0x1000, v5
	v_med3_i32 v7, v7, 0, 13
	v_lshrrev_b32_e32 v8, v7, v1
	v_lshlrev_b32_e32 v7, v7, v8
	v_cmp_ne_u32_e32 vcc, v7, v1
	v_fma_f16 v6, v35, v13, -v6
	v_cndmask_b32_e64 v1, 0, 1, vcc
	v_add_u32_e32 v7, 0xfffffc10, v2
	v_cvt_f32_f16_e32 v6, v6
	v_or_b32_e32 v1, v8, v1
	v_lshl_or_b32 v2, v7, 12, v5
	v_cmp_gt_i32_e32 vcc, 1, v7
	v_cndmask_b32_e32 v1, v2, v1, vcc
	v_and_b32_e32 v2, 7, v1
	v_cmp_lt_i32_e32 vcc, 5, v2
	v_cmp_eq_u32_e64 s[0:1], 3, v2
	v_lshrrev_b32_e32 v8, 2, v1
	v_cvt_f64_f32_e32 v[1:2], v6
	s_or_b64 vcc, s[0:1], vcc
	v_addc_co_u32_e32 v6, vcc, 0, v8, vcc
	v_mul_f64 v[1:2], v[1:2], s[2:3]
	v_cmp_gt_i32_e32 vcc, 31, v7
	v_cndmask_b32_e32 v6, v0, v6, vcc
	v_cmp_ne_u32_e32 vcc, 0, v5
	v_cndmask_b32_e64 v5, 0, 1, vcc
	v_lshl_or_b32 v5, v5, 9, v0
	v_cmp_eq_u32_e32 vcc, s8, v7
	v_cndmask_b32_e32 v5, v6, v5, vcc
	v_and_or_b32 v1, v2, s6, v1
	v_lshrrev_b32_e32 v6, 16, v10
	v_cmp_ne_u32_e32 vcc, 0, v1
	v_and_or_b32 v9, v6, s9, v5
	v_cndmask_b32_e64 v1, 0, 1, vcc
	v_lshrrev_b32_e32 v5, 8, v2
	v_bfe_u32 v6, v2, 20, 11
	v_and_or_b32 v1, v5, s7, v1
	v_sub_u32_e32 v7, 0x3f1, v6
	v_or_b32_e32 v5, 0x1000, v1
	v_med3_i32 v7, v7, 0, 13
	v_lshrrev_b32_e32 v8, v7, v5
	v_lshlrev_b32_e32 v7, v7, v8
	v_cmp_ne_u32_e32 vcc, v7, v5
	v_cndmask_b32_e64 v5, 0, 1, vcc
	v_add_u32_e32 v7, 0xfffffc10, v6
	v_or_b32_e32 v5, v8, v5
	v_lshl_or_b32 v6, v7, 12, v1
	v_cmp_gt_i32_e32 vcc, 1, v7
	v_cndmask_b32_e32 v5, v6, v5, vcc
	v_and_b32_e32 v6, 7, v5
	v_cmp_lt_i32_e32 vcc, 5, v6
	v_cmp_eq_u32_e64 s[0:1], 3, v6
	v_lshrrev_b32_e32 v5, 2, v5
	s_or_b64 vcc, s[0:1], vcc
	v_addc_co_u32_e32 v8, vcc, 0, v5, vcc
	ds_read2_b32 v[5:6], v16 offset0:160 offset1:208
	v_cmp_gt_i32_e32 vcc, 31, v7
	v_cndmask_b32_e32 v8, v0, v8, vcc
	v_cmp_ne_u32_e32 vcc, 0, v1
	v_cndmask_b32_e64 v1, 0, 1, vcc
	s_waitcnt lgkmcnt(0)
	v_lshrrev_b32_e32 v10, 16, v5
	v_mul_f16_sdwa v11, v33, v10 dst_sel:DWORD dst_unused:UNUSED_PAD src0_sel:WORD_1 src1_sel:DWORD
	v_fma_f16 v11, v33, v5, v11
	v_cvt_f32_f16_e32 v11, v11
	v_lshl_or_b32 v1, v1, 9, v0
	v_cmp_eq_u32_e32 vcc, s8, v7
	v_cndmask_b32_e32 v1, v8, v1, vcc
	v_cvt_f64_f32_e32 v[7:8], v11
	v_lshrrev_b32_e32 v2, 16, v2
	v_and_or_b32 v11, v2, s9, v1
	v_add_co_u32_e32 v3, vcc, s13, v3
	v_mul_f64 v[1:2], v[7:8], s[2:3]
	v_mov_b32_e32 v8, s12
	v_and_b32_e32 v9, 0xffff, v9
	v_addc_co_u32_e32 v4, vcc, v4, v8, vcc
	v_lshl_or_b32 v7, v11, 16, v9
	global_store_dword v[3:4], v7, off
	v_mul_f16_sdwa v5, v33, v5 dst_sel:DWORD dst_unused:UNUSED_PAD src0_sel:WORD_1 src1_sel:DWORD
	v_and_or_b32 v1, v2, s6, v1
	v_cmp_ne_u32_e32 vcc, 0, v1
	v_cndmask_b32_e64 v1, 0, 1, vcc
	v_lshrrev_b32_e32 v7, 8, v2
	v_bfe_u32 v8, v2, 20, 11
	v_and_or_b32 v1, v7, s7, v1
	v_sub_u32_e32 v9, 0x3f1, v8
	v_or_b32_e32 v7, 0x1000, v1
	v_med3_i32 v9, v9, 0, 13
	v_lshrrev_b32_e32 v11, v9, v7
	v_lshlrev_b32_e32 v9, v9, v11
	v_cmp_ne_u32_e32 vcc, v9, v7
	v_fma_f16 v5, v33, v10, -v5
	v_cndmask_b32_e64 v7, 0, 1, vcc
	v_add_u32_e32 v9, 0xfffffc10, v8
	v_cvt_f32_f16_e32 v5, v5
	v_or_b32_e32 v7, v11, v7
	v_lshl_or_b32 v8, v9, 12, v1
	v_cmp_gt_i32_e32 vcc, 1, v9
	v_cndmask_b32_e32 v7, v8, v7, vcc
	v_and_b32_e32 v8, 7, v7
	v_cmp_lt_i32_e32 vcc, 5, v8
	v_cmp_eq_u32_e64 s[0:1], 3, v8
	v_lshrrev_b32_e32 v10, 2, v7
	v_cvt_f64_f32_e32 v[7:8], v5
	s_or_b64 vcc, s[0:1], vcc
	v_addc_co_u32_e32 v5, vcc, 0, v10, vcc
	v_mul_f64 v[7:8], v[7:8], s[2:3]
	v_cmp_gt_i32_e32 vcc, 31, v9
	v_cndmask_b32_e32 v5, v0, v5, vcc
	v_cmp_ne_u32_e32 vcc, 0, v1
	v_cndmask_b32_e64 v1, 0, 1, vcc
	v_lshl_or_b32 v1, v1, 9, v0
	v_cmp_eq_u32_e32 vcc, s8, v9
	v_cndmask_b32_e32 v1, v5, v1, vcc
	v_lshrrev_b32_e32 v2, 16, v2
	v_and_or_b32 v5, v2, s9, v1
	v_and_or_b32 v1, v8, s6, v7
	v_cmp_ne_u32_e32 vcc, 0, v1
	v_cndmask_b32_e64 v1, 0, 1, vcc
	v_lshrrev_b32_e32 v2, 8, v8
	v_bfe_u32 v7, v8, 20, 11
	v_and_or_b32 v1, v2, s7, v1
	v_sub_u32_e32 v9, 0x3f1, v7
	v_or_b32_e32 v2, 0x1000, v1
	v_med3_i32 v9, v9, 0, 13
	v_lshrrev_b32_e32 v10, v9, v2
	v_lshlrev_b32_e32 v9, v9, v10
	v_cmp_ne_u32_e32 vcc, v9, v2
	v_cndmask_b32_e64 v2, 0, 1, vcc
	v_add_u32_e32 v7, 0xfffffc10, v7
	v_or_b32_e32 v2, v10, v2
	v_lshl_or_b32 v9, v7, 12, v1
	v_cmp_gt_i32_e32 vcc, 1, v7
	v_cndmask_b32_e32 v2, v9, v2, vcc
	v_and_b32_e32 v9, 7, v2
	v_cmp_lt_i32_e32 vcc, 5, v9
	v_cmp_eq_u32_e64 s[0:1], 3, v9
	v_lshrrev_b32_e32 v9, 16, v6
	v_lshrrev_b32_e32 v2, 2, v2
	s_or_b64 vcc, s[0:1], vcc
	v_mul_f16_sdwa v10, v32, v9 dst_sel:DWORD dst_unused:UNUSED_PAD src0_sel:WORD_1 src1_sel:DWORD
	v_addc_co_u32_e32 v2, vcc, 0, v2, vcc
	v_fma_f16 v10, v32, v6, v10
	v_cmp_gt_i32_e32 vcc, 31, v7
	v_cvt_f32_f16_e32 v10, v10
	v_cndmask_b32_e32 v2, v0, v2, vcc
	v_cmp_ne_u32_e32 vcc, 0, v1
	v_cndmask_b32_e64 v1, 0, 1, vcc
	v_lshl_or_b32 v1, v1, 9, v0
	v_cmp_eq_u32_e32 vcc, s8, v7
	v_cndmask_b32_e32 v7, v2, v1, vcc
	v_cvt_f64_f32_e32 v[1:2], v10
	v_lshrrev_b32_e32 v8, 16, v8
	v_and_or_b32 v7, v8, s9, v7
	v_and_b32_e32 v5, 0xffff, v5
	v_mul_f64 v[1:2], v[1:2], s[2:3]
	v_lshl_or_b32 v5, v7, 16, v5
	v_mov_b32_e32 v7, s10
	v_add_co_u32_e32 v3, vcc, s11, v3
	v_addc_co_u32_e32 v4, vcc, v4, v7, vcc
	global_store_dword v[3:4], v5, off
	v_and_or_b32 v1, v2, s6, v1
	v_cmp_ne_u32_e32 vcc, 0, v1
	v_cndmask_b32_e64 v1, 0, 1, vcc
	v_lshrrev_b32_e32 v5, 8, v2
	v_bfe_u32 v7, v2, 20, 11
	v_and_or_b32 v1, v5, s7, v1
	v_sub_u32_e32 v8, 0x3f1, v7
	v_or_b32_e32 v5, 0x1000, v1
	v_med3_i32 v8, v8, 0, 13
	v_lshrrev_b32_e32 v10, v8, v5
	v_lshlrev_b32_e32 v8, v8, v10
	v_mul_f16_sdwa v6, v32, v6 dst_sel:DWORD dst_unused:UNUSED_PAD src0_sel:WORD_1 src1_sel:DWORD
	v_cmp_ne_u32_e32 vcc, v8, v5
	v_fma_f16 v6, v32, v9, -v6
	v_cndmask_b32_e64 v5, 0, 1, vcc
	v_add_u32_e32 v7, 0xfffffc10, v7
	v_cvt_f32_f16_e32 v6, v6
	v_or_b32_e32 v5, v10, v5
	v_lshl_or_b32 v8, v7, 12, v1
	v_cmp_gt_i32_e32 vcc, 1, v7
	v_cndmask_b32_e32 v5, v8, v5, vcc
	v_and_b32_e32 v8, 7, v5
	v_cmp_lt_i32_e32 vcc, 5, v8
	v_cmp_eq_u32_e64 s[0:1], 3, v8
	v_lshrrev_b32_e32 v8, 2, v5
	v_cvt_f64_f32_e32 v[5:6], v6
	s_or_b64 vcc, s[0:1], vcc
	v_addc_co_u32_e32 v8, vcc, 0, v8, vcc
	v_mul_f64 v[5:6], v[5:6], s[2:3]
	v_cmp_gt_i32_e32 vcc, 31, v7
	v_cndmask_b32_e32 v8, v0, v8, vcc
	v_cmp_ne_u32_e32 vcc, 0, v1
	v_cndmask_b32_e64 v1, 0, 1, vcc
	v_lshl_or_b32 v1, v1, 9, v0
	v_cmp_eq_u32_e32 vcc, s8, v7
	v_cndmask_b32_e32 v1, v8, v1, vcc
	v_lshrrev_b32_e32 v2, 16, v2
	v_and_or_b32 v1, v2, s9, v1
	v_and_or_b32 v2, v6, s6, v5
	v_cmp_ne_u32_e32 vcc, 0, v2
	v_cndmask_b32_e64 v2, 0, 1, vcc
	v_lshrrev_b32_e32 v5, 8, v6
	v_bfe_u32 v7, v6, 20, 11
	v_and_or_b32 v2, v5, s7, v2
	v_sub_u32_e32 v8, 0x3f1, v7
	v_or_b32_e32 v5, 0x1000, v2
	v_med3_i32 v8, v8, 0, 13
	v_lshrrev_b32_e32 v9, v8, v5
	v_lshlrev_b32_e32 v8, v8, v9
	v_cmp_ne_u32_e32 vcc, v8, v5
	v_cndmask_b32_e64 v5, 0, 1, vcc
	v_add_u32_e32 v7, 0xfffffc10, v7
	v_or_b32_e32 v5, v9, v5
	v_lshl_or_b32 v8, v7, 12, v2
	v_cmp_gt_i32_e32 vcc, 1, v7
	v_cndmask_b32_e32 v5, v8, v5, vcc
	v_and_b32_e32 v8, 7, v5
	v_cmp_lt_i32_e32 vcc, 5, v8
	v_cmp_eq_u32_e64 s[0:1], 3, v8
	v_lshrrev_b32_e32 v5, 2, v5
	s_or_b64 vcc, s[0:1], vcc
	v_addc_co_u32_e32 v5, vcc, 0, v5, vcc
	v_cmp_gt_i32_e32 vcc, 31, v7
	v_cndmask_b32_e32 v5, v0, v5, vcc
	v_cmp_ne_u32_e32 vcc, 0, v2
	v_cndmask_b32_e64 v2, 0, 1, vcc
	v_lshl_or_b32 v0, v2, 9, v0
	v_cmp_eq_u32_e32 vcc, s8, v7
	v_cndmask_b32_e32 v0, v5, v0, vcc
	v_lshrrev_b32_e32 v2, 16, v6
	v_and_or_b32 v0, v2, s9, v0
	v_and_b32_e32 v1, 0xffff, v1
	v_lshl_or_b32 v2, v0, 16, v1
	v_mov_b32_e32 v1, s10
	v_add_co_u32_e32 v0, vcc, s11, v3
	v_addc_co_u32_e32 v1, vcc, v4, v1, vcc
	global_store_dword v[0:1], v2, off
.LBB0_10:
	s_endpgm
	.section	.rodata,"a",@progbits
	.p2align	6, 0x0
	.amdhsa_kernel bluestein_single_back_len768_dim1_half_op_CI_CI
		.amdhsa_group_segment_fixed_size 3072
		.amdhsa_private_segment_fixed_size 0
		.amdhsa_kernarg_size 104
		.amdhsa_user_sgpr_count 6
		.amdhsa_user_sgpr_private_segment_buffer 1
		.amdhsa_user_sgpr_dispatch_ptr 0
		.amdhsa_user_sgpr_queue_ptr 0
		.amdhsa_user_sgpr_kernarg_segment_ptr 1
		.amdhsa_user_sgpr_dispatch_id 0
		.amdhsa_user_sgpr_flat_scratch_init 0
		.amdhsa_user_sgpr_private_segment_size 0
		.amdhsa_uses_dynamic_stack 0
		.amdhsa_system_sgpr_private_segment_wavefront_offset 0
		.amdhsa_system_sgpr_workgroup_id_x 1
		.amdhsa_system_sgpr_workgroup_id_y 0
		.amdhsa_system_sgpr_workgroup_id_z 0
		.amdhsa_system_sgpr_workgroup_info 0
		.amdhsa_system_vgpr_workitem_id 0
		.amdhsa_next_free_vgpr 116
		.amdhsa_next_free_sgpr 20
		.amdhsa_reserve_vcc 1
		.amdhsa_reserve_flat_scratch 0
		.amdhsa_float_round_mode_32 0
		.amdhsa_float_round_mode_16_64 0
		.amdhsa_float_denorm_mode_32 3
		.amdhsa_float_denorm_mode_16_64 3
		.amdhsa_dx10_clamp 1
		.amdhsa_ieee_mode 1
		.amdhsa_fp16_overflow 0
		.amdhsa_exception_fp_ieee_invalid_op 0
		.amdhsa_exception_fp_denorm_src 0
		.amdhsa_exception_fp_ieee_div_zero 0
		.amdhsa_exception_fp_ieee_overflow 0
		.amdhsa_exception_fp_ieee_underflow 0
		.amdhsa_exception_fp_ieee_inexact 0
		.amdhsa_exception_int_div_zero 0
	.end_amdhsa_kernel
	.text
.Lfunc_end0:
	.size	bluestein_single_back_len768_dim1_half_op_CI_CI, .Lfunc_end0-bluestein_single_back_len768_dim1_half_op_CI_CI
                                        ; -- End function
	.section	.AMDGPU.csdata,"",@progbits
; Kernel info:
; codeLenInByte = 19876
; NumSgprs: 24
; NumVgprs: 116
; ScratchSize: 0
; MemoryBound: 0
; FloatMode: 240
; IeeeMode: 1
; LDSByteSize: 3072 bytes/workgroup (compile time only)
; SGPRBlocks: 2
; VGPRBlocks: 28
; NumSGPRsForWavesPerEU: 24
; NumVGPRsForWavesPerEU: 116
; Occupancy: 2
; WaveLimiterHint : 1
; COMPUTE_PGM_RSRC2:SCRATCH_EN: 0
; COMPUTE_PGM_RSRC2:USER_SGPR: 6
; COMPUTE_PGM_RSRC2:TRAP_HANDLER: 0
; COMPUTE_PGM_RSRC2:TGID_X_EN: 1
; COMPUTE_PGM_RSRC2:TGID_Y_EN: 0
; COMPUTE_PGM_RSRC2:TGID_Z_EN: 0
; COMPUTE_PGM_RSRC2:TIDIG_COMP_CNT: 0
	.type	__hip_cuid_cb3b82db700b90ca,@object ; @__hip_cuid_cb3b82db700b90ca
	.section	.bss,"aw",@nobits
	.globl	__hip_cuid_cb3b82db700b90ca
__hip_cuid_cb3b82db700b90ca:
	.byte	0                               ; 0x0
	.size	__hip_cuid_cb3b82db700b90ca, 1

	.ident	"AMD clang version 19.0.0git (https://github.com/RadeonOpenCompute/llvm-project roc-6.4.0 25133 c7fe45cf4b819c5991fe208aaa96edf142730f1d)"
	.section	".note.GNU-stack","",@progbits
	.addrsig
	.addrsig_sym __hip_cuid_cb3b82db700b90ca
	.amdgpu_metadata
---
amdhsa.kernels:
  - .args:
      - .actual_access:  read_only
        .address_space:  global
        .offset:         0
        .size:           8
        .value_kind:     global_buffer
      - .actual_access:  read_only
        .address_space:  global
        .offset:         8
        .size:           8
        .value_kind:     global_buffer
      - .actual_access:  read_only
        .address_space:  global
        .offset:         16
        .size:           8
        .value_kind:     global_buffer
      - .actual_access:  read_only
        .address_space:  global
        .offset:         24
        .size:           8
        .value_kind:     global_buffer
      - .actual_access:  read_only
        .address_space:  global
        .offset:         32
        .size:           8
        .value_kind:     global_buffer
      - .offset:         40
        .size:           8
        .value_kind:     by_value
      - .address_space:  global
        .offset:         48
        .size:           8
        .value_kind:     global_buffer
      - .address_space:  global
        .offset:         56
        .size:           8
        .value_kind:     global_buffer
      - .address_space:  global
        .offset:         64
        .size:           8
        .value_kind:     global_buffer
      - .address_space:  global
        .offset:         72
        .size:           8
        .value_kind:     global_buffer
      - .offset:         80
        .size:           4
        .value_kind:     by_value
      - .address_space:  global
        .offset:         88
        .size:           8
        .value_kind:     global_buffer
      - .address_space:  global
        .offset:         96
        .size:           8
        .value_kind:     global_buffer
    .group_segment_fixed_size: 3072
    .kernarg_segment_align: 8
    .kernarg_segment_size: 104
    .language:       OpenCL C
    .language_version:
      - 2
      - 0
    .max_flat_workgroup_size: 48
    .name:           bluestein_single_back_len768_dim1_half_op_CI_CI
    .private_segment_fixed_size: 0
    .sgpr_count:     24
    .sgpr_spill_count: 0
    .symbol:         bluestein_single_back_len768_dim1_half_op_CI_CI.kd
    .uniform_work_group_size: 1
    .uses_dynamic_stack: false
    .vgpr_count:     116
    .vgpr_spill_count: 0
    .wavefront_size: 64
amdhsa.target:   amdgcn-amd-amdhsa--gfx906
amdhsa.version:
  - 1
  - 2
...

	.end_amdgpu_metadata
